;; amdgpu-corpus repo=ROCm/rocFFT kind=compiled arch=gfx1201 opt=O3
	.text
	.amdgcn_target "amdgcn-amd-amdhsa--gfx1201"
	.amdhsa_code_object_version 6
	.protected	fft_rtc_fwd_len2016_factors_2_2_2_2_2_3_3_7_wgs_224_tpt_112_halfLds_sp_ip_CI_unitstride_sbrr_dirReg ; -- Begin function fft_rtc_fwd_len2016_factors_2_2_2_2_2_3_3_7_wgs_224_tpt_112_halfLds_sp_ip_CI_unitstride_sbrr_dirReg
	.globl	fft_rtc_fwd_len2016_factors_2_2_2_2_2_3_3_7_wgs_224_tpt_112_halfLds_sp_ip_CI_unitstride_sbrr_dirReg
	.p2align	8
	.type	fft_rtc_fwd_len2016_factors_2_2_2_2_2_3_3_7_wgs_224_tpt_112_halfLds_sp_ip_CI_unitstride_sbrr_dirReg,@function
fft_rtc_fwd_len2016_factors_2_2_2_2_2_3_3_7_wgs_224_tpt_112_halfLds_sp_ip_CI_unitstride_sbrr_dirReg: ; @fft_rtc_fwd_len2016_factors_2_2_2_2_2_3_3_7_wgs_224_tpt_112_halfLds_sp_ip_CI_unitstride_sbrr_dirReg
; %bb.0:
	s_clause 0x2
	s_load_b128 s[4:7], s[0:1], 0x0
	s_load_b64 s[8:9], s[0:1], 0x50
	s_load_b64 s[10:11], s[0:1], 0x18
	v_mul_u32_u24_e32 v1, 0x24a, v0
	v_mov_b32_e32 v3, 0
	s_delay_alu instid0(VALU_DEP_2) | instskip(SKIP_2) | instid1(VALU_DEP_4)
	v_lshrrev_b32_e32 v40, 16, v1
	v_mov_b32_e32 v1, 0
	v_mov_b32_e32 v2, 0
	;; [unrolled: 1-line block ×3, first 2 shown]
	s_delay_alu instid0(VALU_DEP_4) | instskip(SKIP_2) | instid1(VALU_DEP_1)
	v_lshl_add_u32 v5, ttmp9, 1, v40
	s_wait_kmcnt 0x0
	v_cmp_lt_u64_e64 s2, s[6:7], 2
	s_and_b32 vcc_lo, exec_lo, s2
	s_cbranch_vccnz .LBB0_8
; %bb.1:
	s_load_b64 s[2:3], s[0:1], 0x10
	v_mov_b32_e32 v1, 0
	v_mov_b32_e32 v2, 0
	s_add_nc_u64 s[12:13], s[10:11], 8
	s_mov_b64 s[14:15], 1
	s_wait_kmcnt 0x0
	s_add_nc_u64 s[16:17], s[2:3], 8
	s_mov_b32 s3, 0
.LBB0_2:                                ; =>This Inner Loop Header: Depth=1
	s_load_b64 s[18:19], s[16:17], 0x0
                                        ; implicit-def: $vgpr7_vgpr8
	s_mov_b32 s2, exec_lo
	s_wait_kmcnt 0x0
	v_or_b32_e32 v4, s19, v6
	s_delay_alu instid0(VALU_DEP_1)
	v_cmpx_ne_u64_e32 0, v[3:4]
	s_wait_alu 0xfffe
	s_xor_b32 s20, exec_lo, s2
	s_cbranch_execz .LBB0_4
; %bb.3:                                ;   in Loop: Header=BB0_2 Depth=1
	s_cvt_f32_u32 s2, s18
	s_cvt_f32_u32 s21, s19
	s_sub_nc_u64 s[24:25], 0, s[18:19]
	s_wait_alu 0xfffe
	s_delay_alu instid0(SALU_CYCLE_1) | instskip(SKIP_1) | instid1(SALU_CYCLE_2)
	s_fmamk_f32 s2, s21, 0x4f800000, s2
	s_wait_alu 0xfffe
	v_s_rcp_f32 s2, s2
	s_delay_alu instid0(TRANS32_DEP_1) | instskip(SKIP_1) | instid1(SALU_CYCLE_2)
	s_mul_f32 s2, s2, 0x5f7ffffc
	s_wait_alu 0xfffe
	s_mul_f32 s21, s2, 0x2f800000
	s_wait_alu 0xfffe
	s_delay_alu instid0(SALU_CYCLE_2) | instskip(SKIP_1) | instid1(SALU_CYCLE_2)
	s_trunc_f32 s21, s21
	s_wait_alu 0xfffe
	s_fmamk_f32 s2, s21, 0xcf800000, s2
	s_cvt_u32_f32 s23, s21
	s_wait_alu 0xfffe
	s_delay_alu instid0(SALU_CYCLE_1) | instskip(SKIP_1) | instid1(SALU_CYCLE_2)
	s_cvt_u32_f32 s22, s2
	s_wait_alu 0xfffe
	s_mul_u64 s[26:27], s[24:25], s[22:23]
	s_wait_alu 0xfffe
	s_mul_hi_u32 s29, s22, s27
	s_mul_i32 s28, s22, s27
	s_mul_hi_u32 s2, s22, s26
	s_mul_i32 s30, s23, s26
	s_wait_alu 0xfffe
	s_add_nc_u64 s[28:29], s[2:3], s[28:29]
	s_mul_hi_u32 s21, s23, s26
	s_mul_hi_u32 s31, s23, s27
	s_add_co_u32 s2, s28, s30
	s_wait_alu 0xfffe
	s_add_co_ci_u32 s2, s29, s21
	s_mul_i32 s26, s23, s27
	s_add_co_ci_u32 s27, s31, 0
	s_wait_alu 0xfffe
	s_add_nc_u64 s[26:27], s[2:3], s[26:27]
	s_wait_alu 0xfffe
	v_add_co_u32 v4, s2, s22, s26
	s_delay_alu instid0(VALU_DEP_1) | instskip(SKIP_1) | instid1(VALU_DEP_1)
	s_cmp_lg_u32 s2, 0
	s_add_co_ci_u32 s23, s23, s27
	v_readfirstlane_b32 s22, v4
	s_wait_alu 0xfffe
	s_delay_alu instid0(VALU_DEP_1)
	s_mul_u64 s[24:25], s[24:25], s[22:23]
	s_wait_alu 0xfffe
	s_mul_hi_u32 s27, s22, s25
	s_mul_i32 s26, s22, s25
	s_mul_hi_u32 s2, s22, s24
	s_mul_i32 s28, s23, s24
	s_wait_alu 0xfffe
	s_add_nc_u64 s[26:27], s[2:3], s[26:27]
	s_mul_hi_u32 s21, s23, s24
	s_mul_hi_u32 s22, s23, s25
	s_wait_alu 0xfffe
	s_add_co_u32 s2, s26, s28
	s_add_co_ci_u32 s2, s27, s21
	s_mul_i32 s24, s23, s25
	s_add_co_ci_u32 s25, s22, 0
	s_wait_alu 0xfffe
	s_add_nc_u64 s[24:25], s[2:3], s[24:25]
	s_wait_alu 0xfffe
	v_add_co_u32 v4, s2, v4, s24
	s_delay_alu instid0(VALU_DEP_1) | instskip(SKIP_1) | instid1(VALU_DEP_1)
	s_cmp_lg_u32 s2, 0
	s_add_co_ci_u32 s2, s23, s25
	v_mul_hi_u32 v13, v5, v4
	s_wait_alu 0xfffe
	v_mad_co_u64_u32 v[7:8], null, v5, s2, 0
	v_mad_co_u64_u32 v[9:10], null, v6, v4, 0
	;; [unrolled: 1-line block ×3, first 2 shown]
	s_delay_alu instid0(VALU_DEP_3) | instskip(SKIP_1) | instid1(VALU_DEP_4)
	v_add_co_u32 v4, vcc_lo, v13, v7
	s_wait_alu 0xfffd
	v_add_co_ci_u32_e32 v7, vcc_lo, 0, v8, vcc_lo
	s_delay_alu instid0(VALU_DEP_2) | instskip(SKIP_1) | instid1(VALU_DEP_2)
	v_add_co_u32 v4, vcc_lo, v4, v9
	s_wait_alu 0xfffd
	v_add_co_ci_u32_e32 v4, vcc_lo, v7, v10, vcc_lo
	s_wait_alu 0xfffd
	v_add_co_ci_u32_e32 v7, vcc_lo, 0, v12, vcc_lo
	s_delay_alu instid0(VALU_DEP_2) | instskip(SKIP_1) | instid1(VALU_DEP_2)
	v_add_co_u32 v4, vcc_lo, v4, v11
	s_wait_alu 0xfffd
	v_add_co_ci_u32_e32 v9, vcc_lo, 0, v7, vcc_lo
	s_delay_alu instid0(VALU_DEP_2) | instskip(SKIP_1) | instid1(VALU_DEP_3)
	v_mul_lo_u32 v10, s19, v4
	v_mad_co_u64_u32 v[7:8], null, s18, v4, 0
	v_mul_lo_u32 v11, s18, v9
	s_delay_alu instid0(VALU_DEP_2) | instskip(NEXT) | instid1(VALU_DEP_2)
	v_sub_co_u32 v7, vcc_lo, v5, v7
	v_add3_u32 v8, v8, v11, v10
	s_delay_alu instid0(VALU_DEP_1) | instskip(SKIP_1) | instid1(VALU_DEP_1)
	v_sub_nc_u32_e32 v10, v6, v8
	s_wait_alu 0xfffd
	v_subrev_co_ci_u32_e64 v10, s2, s19, v10, vcc_lo
	v_add_co_u32 v11, s2, v4, 2
	s_wait_alu 0xf1ff
	v_add_co_ci_u32_e64 v12, s2, 0, v9, s2
	v_sub_co_u32 v13, s2, v7, s18
	v_sub_co_ci_u32_e32 v8, vcc_lo, v6, v8, vcc_lo
	s_wait_alu 0xf1ff
	v_subrev_co_ci_u32_e64 v10, s2, 0, v10, s2
	s_delay_alu instid0(VALU_DEP_3) | instskip(NEXT) | instid1(VALU_DEP_3)
	v_cmp_le_u32_e32 vcc_lo, s18, v13
	v_cmp_eq_u32_e64 s2, s19, v8
	s_wait_alu 0xfffd
	v_cndmask_b32_e64 v13, 0, -1, vcc_lo
	v_cmp_le_u32_e32 vcc_lo, s19, v10
	s_wait_alu 0xfffd
	v_cndmask_b32_e64 v14, 0, -1, vcc_lo
	v_cmp_le_u32_e32 vcc_lo, s18, v7
	;; [unrolled: 3-line block ×3, first 2 shown]
	s_wait_alu 0xfffd
	v_cndmask_b32_e64 v15, 0, -1, vcc_lo
	v_cmp_eq_u32_e32 vcc_lo, s19, v10
	s_wait_alu 0xf1ff
	s_delay_alu instid0(VALU_DEP_2)
	v_cndmask_b32_e64 v7, v15, v7, s2
	s_wait_alu 0xfffd
	v_cndmask_b32_e32 v10, v14, v13, vcc_lo
	v_add_co_u32 v13, vcc_lo, v4, 1
	s_wait_alu 0xfffd
	v_add_co_ci_u32_e32 v14, vcc_lo, 0, v9, vcc_lo
	s_delay_alu instid0(VALU_DEP_3) | instskip(SKIP_2) | instid1(VALU_DEP_3)
	v_cmp_ne_u32_e32 vcc_lo, 0, v10
	s_wait_alu 0xfffd
	v_cndmask_b32_e32 v10, v13, v11, vcc_lo
	v_cndmask_b32_e32 v8, v14, v12, vcc_lo
	v_cmp_ne_u32_e32 vcc_lo, 0, v7
	s_wait_alu 0xfffd
	s_delay_alu instid0(VALU_DEP_2)
	v_dual_cndmask_b32 v7, v4, v10 :: v_dual_cndmask_b32 v8, v9, v8
.LBB0_4:                                ;   in Loop: Header=BB0_2 Depth=1
	s_wait_alu 0xfffe
	s_and_not1_saveexec_b32 s2, s20
	s_cbranch_execz .LBB0_6
; %bb.5:                                ;   in Loop: Header=BB0_2 Depth=1
	v_cvt_f32_u32_e32 v4, s18
	s_sub_co_i32 s20, 0, s18
	s_delay_alu instid0(VALU_DEP_1) | instskip(NEXT) | instid1(TRANS32_DEP_1)
	v_rcp_iflag_f32_e32 v4, v4
	v_mul_f32_e32 v4, 0x4f7ffffe, v4
	s_delay_alu instid0(VALU_DEP_1) | instskip(SKIP_1) | instid1(VALU_DEP_1)
	v_cvt_u32_f32_e32 v4, v4
	s_wait_alu 0xfffe
	v_mul_lo_u32 v7, s20, v4
	s_delay_alu instid0(VALU_DEP_1) | instskip(NEXT) | instid1(VALU_DEP_1)
	v_mul_hi_u32 v7, v4, v7
	v_add_nc_u32_e32 v4, v4, v7
	s_delay_alu instid0(VALU_DEP_1) | instskip(NEXT) | instid1(VALU_DEP_1)
	v_mul_hi_u32 v4, v5, v4
	v_mul_lo_u32 v7, v4, s18
	v_add_nc_u32_e32 v8, 1, v4
	s_delay_alu instid0(VALU_DEP_2) | instskip(NEXT) | instid1(VALU_DEP_1)
	v_sub_nc_u32_e32 v7, v5, v7
	v_subrev_nc_u32_e32 v9, s18, v7
	v_cmp_le_u32_e32 vcc_lo, s18, v7
	s_wait_alu 0xfffd
	s_delay_alu instid0(VALU_DEP_2) | instskip(NEXT) | instid1(VALU_DEP_1)
	v_dual_cndmask_b32 v7, v7, v9 :: v_dual_cndmask_b32 v4, v4, v8
	v_cmp_le_u32_e32 vcc_lo, s18, v7
	s_delay_alu instid0(VALU_DEP_2) | instskip(SKIP_1) | instid1(VALU_DEP_1)
	v_add_nc_u32_e32 v8, 1, v4
	s_wait_alu 0xfffd
	v_dual_cndmask_b32 v7, v4, v8 :: v_dual_mov_b32 v8, v3
.LBB0_6:                                ;   in Loop: Header=BB0_2 Depth=1
	s_wait_alu 0xfffe
	s_or_b32 exec_lo, exec_lo, s2
	s_load_b64 s[20:21], s[12:13], 0x0
	s_delay_alu instid0(VALU_DEP_1)
	v_mul_lo_u32 v4, v8, s18
	v_mul_lo_u32 v11, v7, s19
	v_mad_co_u64_u32 v[9:10], null, v7, s18, 0
	s_add_nc_u64 s[14:15], s[14:15], 1
	s_add_nc_u64 s[12:13], s[12:13], 8
	s_wait_alu 0xfffe
	v_cmp_ge_u64_e64 s2, s[14:15], s[6:7]
	s_add_nc_u64 s[16:17], s[16:17], 8
	s_delay_alu instid0(VALU_DEP_2) | instskip(NEXT) | instid1(VALU_DEP_3)
	v_add3_u32 v4, v10, v11, v4
	v_sub_co_u32 v5, vcc_lo, v5, v9
	s_wait_alu 0xfffd
	s_delay_alu instid0(VALU_DEP_2) | instskip(SKIP_3) | instid1(VALU_DEP_2)
	v_sub_co_ci_u32_e32 v4, vcc_lo, v6, v4, vcc_lo
	s_and_b32 vcc_lo, exec_lo, s2
	s_wait_kmcnt 0x0
	v_mul_lo_u32 v6, s21, v5
	v_mul_lo_u32 v4, s20, v4
	v_mad_co_u64_u32 v[1:2], null, s20, v5, v[1:2]
	s_delay_alu instid0(VALU_DEP_1)
	v_add3_u32 v2, v6, v2, v4
	s_wait_alu 0xfffe
	s_cbranch_vccnz .LBB0_9
; %bb.7:                                ;   in Loop: Header=BB0_2 Depth=1
	v_dual_mov_b32 v5, v7 :: v_dual_mov_b32 v6, v8
	s_branch .LBB0_2
.LBB0_8:
	v_dual_mov_b32 v8, v6 :: v_dual_mov_b32 v7, v5
.LBB0_9:
	s_lshl_b64 s[2:3], s[6:7], 3
	v_mul_hi_u32 v3, 0x2492493, v0
	s_wait_alu 0xfffe
	s_add_nc_u64 s[2:3], s[10:11], s[2:3]
	s_load_b64 s[2:3], s[2:3], 0x0
	s_load_b64 s[0:1], s[0:1], 0x20
	s_delay_alu instid0(VALU_DEP_1) | instskip(NEXT) | instid1(VALU_DEP_1)
	v_mul_u32_u24_e32 v3, 0x70, v3
	v_sub_nc_u32_e32 v0, v0, v3
	s_delay_alu instid0(VALU_DEP_1)
	v_or_b32_e32 v41, 0x380, v0
	s_wait_kmcnt 0x0
	v_mul_lo_u32 v4, s2, v8
	v_mul_lo_u32 v5, s3, v7
	v_mad_co_u64_u32 v[1:2], null, s2, v7, v[1:2]
	v_cmp_gt_u64_e32 vcc_lo, s[0:1], v[7:8]
	v_cmp_le_u64_e64 s0, s[0:1], v[7:8]
                                        ; implicit-def: $sgpr2_sgpr3
	s_delay_alu instid0(VALU_DEP_3) | instskip(NEXT) | instid1(VALU_DEP_2)
	v_add3_u32 v2, v5, v2, v4
	s_and_saveexec_b32 s1, s0
	s_wait_alu 0xfffe
	s_xor_b32 s0, exec_lo, s1
; %bb.10:
	v_or_b32_e32 v41, 0x380, v0
	s_mov_b64 s[2:3], 0
; %bb.11:
	s_wait_alu 0xfffe
	s_or_saveexec_b32 s1, s0
	v_lshlrev_b64_e32 v[2:3], 3, v[1:2]
	v_dual_mov_b32 v7, s3 :: v_dual_mov_b32 v6, s2
	v_dual_mov_b32 v15, s3 :: v_dual_mov_b32 v14, s2
	v_dual_mov_b32 v17, s3 :: v_dual_mov_b32 v16, s2
	v_dual_mov_b32 v9, s3 :: v_dual_mov_b32 v8, s2
	v_dual_mov_b32 v21, s3 :: v_dual_mov_b32 v20, s2
	v_dual_mov_b32 v19, s3 :: v_dual_mov_b32 v18, s2
	v_dual_mov_b32 v11, s3 :: v_dual_mov_b32 v10, s2
	v_dual_mov_b32 v13, s3 :: v_dual_mov_b32 v12, s2
	v_dual_mov_b32 v5, s3 :: v_dual_mov_b32 v4, s2
                                        ; implicit-def: $vgpr39
                                        ; implicit-def: $vgpr23
                                        ; implicit-def: $vgpr25
                                        ; implicit-def: $vgpr27
                                        ; implicit-def: $vgpr35
                                        ; implicit-def: $vgpr31
                                        ; implicit-def: $vgpr29
                                        ; implicit-def: $vgpr33
                                        ; implicit-def: $vgpr37
	s_wait_alu 0xfffe
	s_xor_b32 exec_lo, exec_lo, s1
; %bb.12:
	v_mov_b32_e32 v1, 0
	s_delay_alu instid0(VALU_DEP_1) | instskip(SKIP_3) | instid1(VALU_DEP_2)
	v_lshlrev_b64_e32 v[4:5], 3, v[0:1]
	v_add_co_u32 v1, s0, s8, v2
	s_wait_alu 0xf1ff
	v_add_co_ci_u32_e64 v6, s0, s9, v3, s0
	v_add_co_u32 v30, s0, v1, v4
	s_wait_alu 0xf1ff
	s_delay_alu instid0(VALU_DEP_2)
	v_add_co_ci_u32_e64 v31, s0, v6, v5, s0
	s_clause 0x11
	global_load_b64 v[36:37], v[30:31], off offset:8960
	global_load_b64 v[32:33], v[30:31], off offset:9856
	global_load_b64 v[6:7], v[30:31], off
	global_load_b64 v[14:15], v[30:31], off offset:896
	global_load_b64 v[16:17], v[30:31], off offset:1792
	global_load_b64 v[8:9], v[30:31], off offset:2688
	global_load_b64 v[22:23], v[30:31], off offset:10752
	global_load_b64 v[24:25], v[30:31], off offset:11648
	global_load_b64 v[26:27], v[30:31], off offset:12544
	global_load_b64 v[28:29], v[30:31], off offset:13440
	global_load_b64 v[20:21], v[30:31], off offset:3584
	global_load_b64 v[18:19], v[30:31], off offset:4480
	global_load_b64 v[10:11], v[30:31], off offset:5376
	global_load_b64 v[12:13], v[30:31], off offset:6272
	global_load_b64 v[38:39], v[30:31], off offset:8064
	global_load_b64 v[4:5], v[30:31], off offset:7168
	global_load_b64 v[34:35], v[30:31], off offset:14336
	global_load_b64 v[30:31], v[30:31], off offset:15232
; %bb.13:
	s_or_b32 exec_lo, exec_lo, s1
	s_wait_loadcnt 0x3
	v_dual_sub_f32 v40, v6, v38 :: v_dual_and_b32 v1, 1, v40
	v_sub_f32_e32 v23, v9, v23
	v_sub_f32_e32 v47, v17, v33
	v_dual_sub_f32 v49, v8, v22 :: v_dual_add_nc_u32 v60, 0x2a0, v0
	s_delay_alu instid0(VALU_DEP_4) | instskip(NEXT) | instid1(VALU_DEP_4)
	v_cmp_eq_u32_e64 s0, 1, v1
	v_fma_f32 v22, v9, 2.0, -v23
	v_sub_f32_e32 v9, v19, v27
	v_sub_f32_e32 v27, v10, v28
	;; [unrolled: 1-line block ×3, first 2 shown]
	s_wait_alu 0xf1ff
	v_cndmask_b32_e64 v38, 0, 0x1f80, s0
	v_fma_f32 v46, v17, 2.0, -v47
	v_sub_f32_e32 v17, v18, v26
	v_fma_f32 v26, v10, 2.0, -v27
	v_lshlrev_b32_e32 v10, 2, v0
	v_fma_f32 v42, v7, 2.0, -v43
	v_sub_f32_e32 v7, v15, v37
	v_sub_f32_e32 v29, v11, v29
	v_add_nc_u32_e32 v1, 0x70, v0
	s_wait_loadcnt 0x1
	v_sub_f32_e32 v51, v12, v34
	v_add3_u32 v34, 0, v10, v38
	v_sub_f32_e32 v37, v16, v32
	v_fma_f32 v39, v6, 2.0, -v40
	v_sub_f32_e32 v45, v14, v36
	v_fma_f32 v6, v15, 2.0, -v7
	v_sub_f32_e32 v15, v20, v24
	v_fma_f32 v48, v8, 2.0, -v49
	v_fma_f32 v8, v19, 2.0, -v9
	s_wait_loadcnt 0x0
	v_sub_f32_e32 v32, v4, v30
	v_fma_f32 v28, v11, 2.0, -v29
	v_add_nc_u32_e32 v19, 0, v38
	v_add_nc_u32_e32 v11, 0x1c0, v0
	v_fma_f32 v50, v12, 2.0, -v51
	v_dual_sub_f32 v55, v5, v31 :: v_dual_add_nc_u32 v12, 0x1000, v34
	v_fma_f32 v36, v16, 2.0, -v37
	v_fma_f32 v16, v18, 2.0, -v17
	v_dual_sub_f32 v25, v21, v25 :: v_dual_add_nc_u32 v18, 0x230, v0
	v_add_nc_u32_e32 v33, 0xe0, v0
	v_fma_f32 v44, v14, 2.0, -v45
	v_fma_f32 v14, v20, 2.0, -v15
	v_add_nc_u32_e32 v20, 0x150, v0
	v_add_nc_u32_e32 v61, 0x310, v0
	v_fma_f32 v31, v4, 2.0, -v32
	v_lshl_add_u32 v4, v0, 3, v19
	v_lshl_add_u32 v62, v11, 3, v19
	v_fma_f32 v54, v5, 2.0, -v55
	v_lshl_add_u32 v5, v1, 3, v19
	v_lshl_add_u32 v63, v18, 3, v19
	v_sub_f32_e32 v53, v13, v35
	v_lshl_add_u32 v64, v60, 3, v19
	v_lshl_add_u32 v66, v41, 3, v19
	v_add_nc_u32_e32 v35, v19, v10
	v_add_nc_u32_e32 v10, 0x800, v34
	v_fma_f32 v24, v21, 2.0, -v25
	v_lshl_add_u32 v21, v33, 3, v19
	v_lshl_add_u32 v30, v20, 3, v19
	;; [unrolled: 1-line block ×3, first 2 shown]
	ds_store_b64 v4, v[39:40]
	ds_store_b64 v5, v[44:45]
	;; [unrolled: 1-line block ×8, first 2 shown]
	v_lshlrev_b32_e32 v17, 2, v41
	v_add_nc_u32_e32 v14, 0xc00, v34
	v_add_nc_u32_e32 v16, 0x1400, v34
	ds_store_b64 v66, v[31:32]
	v_add_nc_u32_e32 v31, 0x1800, v34
	v_add_nc_u32_e32 v15, 0x1c00, v34
	v_fma_f32 v52, v13, 2.0, -v53
	v_add_nc_u32_e32 v13, 0x400, v34
	v_sub_nc_u32_e32 v17, v66, v17
	global_wb scope:SCOPE_SE
	s_wait_dscnt 0x0
	s_barrier_signal -1
	s_barrier_wait -1
	global_inv scope:SCOPE_SE
	ds_load_2addr_b32 v[26:27], v14 offset0:16 offset1:240
	ds_load_2addr_b32 v[36:37], v34 offset0:112 offset1:224
	;; [unrolled: 1-line block ×7, first 2 shown]
	ds_load_2addr_b32 v[58:59], v15 offset1:112
	ds_load_b32 v32, v35
	ds_load_b32 v67, v17
	global_wb scope:SCOPE_SE
	s_wait_dscnt 0x0
	s_barrier_signal -1
	s_barrier_wait -1
	global_inv scope:SCOPE_SE
	ds_store_b64 v4, v[42:43]
	ds_store_b64 v5, v[6:7]
	;; [unrolled: 1-line block ×4, first 2 shown]
	v_and_b32_e32 v30, 1, v0
	v_lshlrev_b32_e32 v22, 1, v60
	v_lshlrev_b32_e32 v6, 1, v1
	;; [unrolled: 1-line block ×3, first 2 shown]
	v_cmp_gt_u32_e64 s0, 0x60, v0
	v_lshlrev_b32_e32 v4, 3, v30
	ds_store_b64 v62, v[24:25]
	ds_store_b64 v63, v[8:9]
	ds_store_b64 v64, v[28:29]
	ds_store_b64 v65, v[52:53]
	ds_store_b64 v66, v[54:55]
	global_wb scope:SCOPE_SE
	s_wait_dscnt 0x0
	s_barrier_signal -1
	s_barrier_wait -1
	global_inv scope:SCOPE_SE
	global_load_b64 v[24:25], v4, s[4:5]
	v_lshlrev_b32_e32 v5, 1, v0
	v_and_or_b32 v29, 0x1fc, v6, v30
	v_and_b32_e32 v66, 3, v0
	v_lshlrev_b32_e32 v8, 1, v20
	v_lshlrev_b32_e32 v4, 1, v41
	v_and_or_b32 v28, 0xfc, v5, v30
	v_lshl_add_u32 v70, v29, 2, v19
	v_lshlrev_b32_e32 v68, 3, v66
	v_and_or_b32 v42, 0x3fc, v8, v30
	v_and_or_b32 v47, 0x5fc, v21, v30
	v_lshl_add_u32 v69, v28, 2, v19
	ds_load_2addr_b32 v[28:29], v14 offset0:16 offset1:240
	v_and_or_b32 v43, 0x7fc, v4, v30
	v_and_or_b32 v52, 0x7fc, v22, v30
	s_wait_loadcnt 0x0
	v_mul_f32_e32 v79, v27, v25
	s_wait_dscnt 0x0
	v_mul_f32_e32 v78, v29, v25
	v_lshl_add_u32 v72, v42, 2, v19
	v_mul_f32_e32 v81, v39, v25
	v_lshl_add_u32 v74, v47, 2, v19
	v_lshl_add_u32 v75, v52, 2, v19
	v_fma_f32 v27, v27, v24, -v78
	v_lshlrev_b32_e32 v7, 1, v33
	v_lshl_add_u32 v76, v43, 2, v19
	v_mul_f32_e32 v83, v40, v25
	v_mul_f32_e32 v89, v56, v25
	;; [unrolled: 1-line block ×3, first 2 shown]
	v_and_or_b32 v41, 0x3fc, v7, v30
	v_fmac_f32_e32 v79, v29, v24
	v_mul_f32_e32 v87, v49, v25
	v_mul_f32_e32 v91, v57, v25
	s_delay_alu instid0(VALU_DEP_4)
	v_lshl_add_u32 v71, v41, 2, v19
	ds_load_2addr_b32 v[41:42], v12 offset0:96 offset1:208
	s_wait_dscnt 0x0
	v_fmac_f32_e32 v81, v41, v24
	v_dual_mul_f32 v80, v41, v25 :: v_dual_lshlrev_b32 v9, 1, v11
	v_mul_f32_e32 v82, v42, v25
	s_delay_alu instid0(VALU_DEP_2) | instskip(NEXT) | instid1(VALU_DEP_3)
	v_and_or_b32 v46, 0x7fc, v9, v30
	v_fma_f32 v39, v39, v24, -v80
	v_mul_f32_e32 v80, v58, v25
	s_delay_alu instid0(VALU_DEP_4) | instskip(NEXT) | instid1(VALU_DEP_4)
	v_fma_f32 v40, v40, v24, -v82
	v_lshl_add_u32 v73, v46, 2, v19
	ds_load_2addr_b32 v[46:47], v16 offset0:64 offset1:176
	s_wait_dscnt 0x0
	v_mul_f32_e32 v86, v47, v25
	v_lshlrev_b32_e32 v23, 1, v61
	ds_load_2addr_b32 v[52:53], v34 offset0:112 offset1:224
	ds_load_2addr_b32 v[54:55], v31 offset0:32 offset1:144
	;; [unrolled: 1-line block ×4, first 2 shown]
	ds_load_2addr_b32 v[64:65], v15 offset1:112
	ds_load_b32 v43, v35
	ds_load_b32 v77, v17
	v_dual_mul_f32 v84, v46, v25 :: v_dual_fmac_f32 v87, v47, v24
	v_fma_f32 v41, v49, v24, -v86
	global_wb scope:SCOPE_SE
	s_wait_dscnt 0x0
	s_barrier_signal -1
	v_fma_f32 v29, v48, v24, -v84
	s_barrier_wait -1
	global_inv scope:SCOPE_SE
	v_sub_f32_e32 v29, v44, v29
	v_mul_f32_e32 v88, v54, v25
	v_dual_mul_f32 v90, v55, v25 :: v_dual_fmac_f32 v89, v54, v24
	v_mul_f32_e32 v82, v65, v25
	v_mul_f32_e32 v92, v64, v25
	;; [unrolled: 1-line block ×3, first 2 shown]
	v_fmac_f32_e32 v91, v55, v24
	v_fmac_f32_e32 v80, v64, v24
	v_fma_f32 v48, v59, v24, -v82
	v_fma_f32 v47, v58, v24, -v92
	v_fmac_f32_e32 v25, v65, v24
	v_fmac_f32_e32 v85, v46, v24
	v_fma_f32 v46, v57, v24, -v90
	v_sub_f32_e32 v48, v67, v48
	v_fmac_f32_e32 v83, v42, v24
	v_fma_f32 v42, v56, v24, -v88
	v_sub_f32_e32 v24, v32, v27
	v_sub_f32_e32 v49, v43, v79
	v_dual_sub_f32 v27, v36, v39 :: v_dual_sub_f32 v58, v62, v89
	v_dual_sub_f32 v54, v52, v81 :: v_dual_sub_f32 v39, v37, v40
	v_sub_f32_e32 v40, v45, v41
	v_sub_f32_e32 v55, v53, v83
	;; [unrolled: 1-line block ×3, first 2 shown]
	v_dual_sub_f32 v56, v60, v85 :: v_dual_sub_f32 v57, v61, v87
	v_sub_f32_e32 v41, v50, v42
	v_sub_f32_e32 v42, v51, v46
	;; [unrolled: 1-line block ×3, first 2 shown]
	v_dual_sub_f32 v46, v26, v47 :: v_dual_sub_f32 v47, v28, v80
	v_and_or_b32 v30, 0x7fc, v23, v30
	v_fma_f32 v25, v32, 2.0, -v24
	v_fma_f32 v32, v43, 2.0, -v49
	;; [unrolled: 1-line block ×16, first 2 shown]
	v_lshl_add_u32 v30, v30, 2, v19
	v_fma_f32 v51, v51, 2.0, -v42
	v_fma_f32 v65, v77, 2.0, -v64
	ds_store_2addr_b32 v69, v25, v24 offset1:2
	ds_store_2addr_b32 v70, v36, v27 offset1:2
	;; [unrolled: 1-line block ×9, first 2 shown]
	global_wb scope:SCOPE_SE
	s_wait_dscnt 0x0
	s_barrier_signal -1
	s_barrier_wait -1
	global_inv scope:SCOPE_SE
	ds_load_2addr_b32 v[24:25], v14 offset0:16 offset1:240
	ds_load_2addr_b32 v[26:27], v34 offset0:112 offset1:224
	;; [unrolled: 1-line block ×7, first 2 shown]
	ds_load_2addr_b32 v[45:46], v15 offset1:112
	ds_load_b32 v67, v35
	ds_load_b32 v77, v17
	global_wb scope:SCOPE_SE
	s_wait_dscnt 0x0
	s_barrier_signal -1
	s_barrier_wait -1
	global_inv scope:SCOPE_SE
	ds_store_2addr_b32 v69, v32, v49 offset1:2
	ds_store_2addr_b32 v70, v52, v54 offset1:2
	;; [unrolled: 1-line block ×9, first 2 shown]
	global_wb scope:SCOPE_SE
	s_wait_dscnt 0x0
	s_barrier_signal -1
	s_barrier_wait -1
	global_inv scope:SCOPE_SE
	global_load_b64 v[47:48], v68, s[4:5] offset:16
	v_and_or_b32 v51, 0x3f8, v8, v66
	v_and_or_b32 v49, 0x1f8, v6, v66
	;; [unrolled: 1-line block ×5, first 2 shown]
	v_lshl_add_u32 v69, v51, 2, v19
	ds_load_2addr_b32 v[51:52], v12 offset0:96 offset1:208
	v_and_or_b32 v32, 0xf8, v5, v66
	v_and_or_b32 v55, 0x7f8, v4, v66
	;; [unrolled: 1-line block ×4, first 2 shown]
	v_lshl_add_u32 v66, v49, 2, v19
	v_lshl_add_u32 v68, v50, 2, v19
	ds_load_2addr_b32 v[49:50], v14 offset0:16 offset1:240
	v_lshl_add_u32 v70, v53, 2, v19
	v_lshl_add_u32 v71, v54, 2, v19
	ds_load_2addr_b32 v[53:54], v16 offset0:64 offset1:176
	v_lshl_add_u32 v72, v56, 2, v19
	v_lshl_add_u32 v73, v57, 2, v19
	;; [unrolled: 1-line block ×3, first 2 shown]
	ds_load_2addr_b32 v[55:56], v34 offset0:112 offset1:224
	ds_load_2addr_b32 v[57:58], v31 offset0:32 offset1:144
	ds_load_2addr_b32 v[59:60], v13 offset0:80 offset1:192
	ds_load_2addr_b32 v[61:62], v10 offset0:48 offset1:160
	ds_load_2addr_b32 v[63:64], v15 offset1:112
	ds_load_b32 v75, v35
	ds_load_b32 v76, v17
	v_and_b32_e32 v30, 7, v0
	v_lshl_add_u32 v32, v32, 2, v19
	global_wb scope:SCOPE_SE
	s_wait_loadcnt_dscnt 0x0
	s_barrier_signal -1
	s_barrier_wait -1
	global_inv scope:SCOPE_SE
	v_mul_f32_e32 v82, v52, v48
	v_mul_f32_e32 v78, v50, v48
	;; [unrolled: 1-line block ×9, first 2 shown]
	v_fma_f32 v29, v29, v47, -v82
	v_mul_f32_e32 v82, v64, v48
	v_mul_f32_e32 v79, v25, v48
	;; [unrolled: 1-line block ×7, first 2 shown]
	v_fma_f32 v28, v28, v47, -v80
	v_mul_f32_e32 v80, v45, v48
	v_mul_f32_e32 v48, v46, v48
	v_fma_f32 v25, v25, v47, -v78
	v_fma_f32 v39, v39, v47, -v84
	;; [unrolled: 1-line block ×7, first 2 shown]
	v_fmac_f32_e32 v80, v63, v47
	v_fmac_f32_e32 v79, v50, v47
	v_dual_fmac_f32 v48, v64, v47 :: v_dual_sub_f32 v25, v67, v25
	v_dual_sub_f32 v28, v26, v28 :: v_dual_lshlrev_b32 v65, 3, v30
	v_dual_fmac_f32 v81, v51, v47 :: v_dual_sub_f32 v40, v37, v40
	v_dual_fmac_f32 v83, v52, v47 :: v_dual_sub_f32 v44, v42, v44
	v_sub_f32_e32 v29, v27, v29
	v_dual_fmac_f32 v85, v53, v47 :: v_dual_sub_f32 v48, v76, v48
	v_sub_f32_e32 v39, v36, v39
	v_fmac_f32_e32 v87, v54, v47
	v_sub_f32_e32 v43, v41, v43
	v_dual_sub_f32 v45, v24, v45 :: v_dual_sub_f32 v46, v77, v46
	v_fmac_f32_e32 v89, v57, v47
	v_dual_fmac_f32 v91, v58, v47 :: v_dual_sub_f32 v58, v49, v80
	v_sub_f32_e32 v47, v75, v79
	v_fma_f32 v63, v67, 2.0, -v25
	v_sub_f32_e32 v50, v55, v81
	v_fma_f32 v26, v26, 2.0, -v28
	v_sub_f32_e32 v51, v56, v83
	v_fma_f32 v27, v27, 2.0, -v29
	v_sub_f32_e32 v52, v59, v85
	v_fma_f32 v36, v36, 2.0, -v39
	v_sub_f32_e32 v53, v60, v87
	v_fma_f32 v37, v37, 2.0, -v40
	v_fma_f32 v41, v41, 2.0, -v43
	v_fma_f32 v42, v42, 2.0, -v44
	;; [unrolled: 1-line block ×4, first 2 shown]
	v_sub_f32_e32 v54, v61, v89
	v_fma_f32 v64, v75, 2.0, -v47
	v_fma_f32 v75, v76, 2.0, -v48
	ds_store_2addr_b32 v32, v63, v25 offset1:4
	ds_store_2addr_b32 v66, v26, v28 offset1:4
	;; [unrolled: 1-line block ×9, first 2 shown]
	global_wb scope:SCOPE_SE
	s_wait_dscnt 0x0
	s_barrier_signal -1
	s_barrier_wait -1
	global_inv scope:SCOPE_SE
	ds_load_2addr_b32 v[24:25], v14 offset0:16 offset1:240
	ds_load_2addr_b32 v[26:27], v34 offset0:112 offset1:224
	;; [unrolled: 1-line block ×7, first 2 shown]
	ds_load_2addr_b32 v[45:46], v15 offset1:112
	ds_load_b32 v67, v35
	ds_load_b32 v76, v17
	v_sub_f32_e32 v57, v62, v91
	v_fma_f32 v55, v55, 2.0, -v50
	v_fma_f32 v56, v56, 2.0, -v51
	;; [unrolled: 1-line block ×7, first 2 shown]
	global_wb scope:SCOPE_SE
	s_wait_dscnt 0x0
	s_barrier_signal -1
	s_barrier_wait -1
	global_inv scope:SCOPE_SE
	ds_store_2addr_b32 v32, v64, v47 offset1:4
	ds_store_2addr_b32 v66, v55, v50 offset1:4
	;; [unrolled: 1-line block ×9, first 2 shown]
	global_wb scope:SCOPE_SE
	s_wait_dscnt 0x0
	s_barrier_signal -1
	s_barrier_wait -1
	global_inv scope:SCOPE_SE
	global_load_b64 v[47:48], v65, s[4:5] offset:48
	v_and_or_b32 v51, 0x3f0, v7, v30
	v_and_or_b32 v52, 0x3f0, v8, v30
	v_and_or_b32 v49, 0xf0, v5, v30
	v_and_or_b32 v50, 0x1f0, v6, v30
	v_and_or_b32 v53, 0x7f0, v9, v30
	v_and_or_b32 v54, 0x5f0, v21, v30
	v_lshl_add_u32 v69, v51, 2, v19
	v_lshl_add_u32 v70, v52, 2, v19
	ds_load_2addr_b32 v[51:52], v12 offset0:96 offset1:208
	v_lshl_add_u32 v66, v49, 2, v19
	v_lshl_add_u32 v68, v50, 2, v19
	ds_load_2addr_b32 v[49:50], v14 offset0:16 offset1:240
	v_and_or_b32 v55, 0x7f0, v4, v30
	v_and_or_b32 v56, 0x7f0, v22, v30
	;; [unrolled: 1-line block ×3, first 2 shown]
	v_lshl_add_u32 v71, v53, 2, v19
	v_lshl_add_u32 v72, v54, 2, v19
	ds_load_2addr_b32 v[53:54], v16 offset0:64 offset1:176
	v_lshl_add_u32 v73, v56, 2, v19
	v_lshl_add_u32 v74, v30, 2, v19
	;; [unrolled: 1-line block ×3, first 2 shown]
	ds_load_2addr_b32 v[55:56], v34 offset0:112 offset1:224
	ds_load_2addr_b32 v[57:58], v31 offset0:32 offset1:144
	;; [unrolled: 1-line block ×4, first 2 shown]
	ds_load_2addr_b32 v[63:64], v15 offset1:112
	ds_load_b32 v30, v35
	ds_load_b32 v77, v17
	global_wb scope:SCOPE_SE
	s_wait_loadcnt_dscnt 0x0
	s_barrier_signal -1
	s_barrier_wait -1
	global_inv scope:SCOPE_SE
	v_and_b32_e32 v32, 15, v0
	s_delay_alu instid0(VALU_DEP_1)
	v_and_or_b32 v5, 0xe0, v5, v32
	v_mul_f32_e32 v80, v51, v48
	v_mul_f32_e32 v82, v52, v48
	;; [unrolled: 1-line block ×6, first 2 shown]
	v_fma_f32 v28, v28, v47, -v80
	v_mul_f32_e32 v80, v45, v48
	v_mul_f32_e32 v83, v29, v48
	;; [unrolled: 1-line block ×5, first 2 shown]
	v_fma_f32 v29, v29, v47, -v82
	v_mul_f32_e32 v82, v64, v48
	v_mul_f32_e32 v92, v63, v48
	v_fma_f32 v25, v25, v47, -v78
	v_mul_f32_e32 v85, v39, v48
	v_mul_f32_e32 v87, v40, v48
	;; [unrolled: 1-line block ×5, first 2 shown]
	v_fma_f32 v39, v39, v47, -v84
	v_fmac_f32_e32 v80, v63, v47
	v_fmac_f32_e32 v79, v50, v47
	v_fma_f32 v40, v40, v47, -v86
	v_fma_f32 v43, v43, v47, -v88
	;; [unrolled: 1-line block ×5, first 2 shown]
	v_sub_f32_e32 v25, v67, v25
	v_dual_fmac_f32 v81, v51, v47 :: v_dual_sub_f32 v28, v26, v28
	v_sub_f32_e32 v29, v27, v29
	v_dual_fmac_f32 v83, v52, v47 :: v_dual_sub_f32 v40, v37, v40
	v_dual_fmac_f32 v85, v53, v47 :: v_dual_sub_f32 v44, v42, v44
	v_fmac_f32_e32 v89, v57, v47
	v_fmac_f32_e32 v91, v58, v47
	v_fmac_f32_e32 v48, v64, v47
	v_fmac_f32_e32 v87, v54, v47
	v_dual_sub_f32 v39, v36, v39 :: v_dual_sub_f32 v58, v49, v80
	v_sub_f32_e32 v47, v30, v79
	v_dual_sub_f32 v43, v41, v43 :: v_dual_sub_f32 v46, v76, v46
	v_sub_f32_e32 v45, v24, v45
	v_fma_f32 v63, v67, 2.0, -v25
	v_fma_f32 v26, v26, 2.0, -v28
	v_sub_f32_e32 v50, v55, v81
	v_fma_f32 v27, v27, 2.0, -v29
	v_sub_f32_e32 v51, v56, v83
	v_fma_f32 v64, v30, 2.0, -v47
	v_fma_f32 v30, v36, 2.0, -v39
	v_sub_f32_e32 v52, v59, v85
	v_fma_f32 v36, v37, 2.0, -v40
	v_fma_f32 v37, v41, 2.0, -v43
	;; [unrolled: 1-line block ×4, first 2 shown]
	v_sub_f32_e32 v48, v77, v48
	v_fma_f32 v24, v24, 2.0, -v45
	ds_store_2addr_b32 v66, v63, v25 offset1:8
	ds_store_2addr_b32 v68, v26, v28 offset1:8
	;; [unrolled: 1-line block ×9, first 2 shown]
	global_wb scope:SCOPE_SE
	s_wait_dscnt 0x0
	s_barrier_signal -1
	s_barrier_wait -1
	global_inv scope:SCOPE_SE
	ds_load_2addr_b32 v[25:26], v14 offset0:16 offset1:240
	ds_load_2addr_b32 v[27:28], v34 offset0:112 offset1:224
	;; [unrolled: 1-line block ×7, first 2 shown]
	ds_load_2addr_b32 v[45:46], v15 offset1:112
	ds_load_b32 v63, v35
	ds_load_b32 v76, v17
	v_dual_sub_f32 v53, v60, v87 :: v_dual_sub_f32 v54, v61, v89
	v_sub_f32_e32 v57, v62, v91
	v_fma_f32 v55, v55, 2.0, -v50
	v_fma_f32 v56, v56, 2.0, -v51
	;; [unrolled: 1-line block ×8, first 2 shown]
	global_wb scope:SCOPE_SE
	s_wait_dscnt 0x0
	s_barrier_signal -1
	s_barrier_wait -1
	global_inv scope:SCOPE_SE
	ds_store_2addr_b32 v66, v64, v47 offset1:8
	ds_store_2addr_b32 v68, v55, v50 offset1:8
	ds_store_2addr_b32 v69, v56, v51 offset1:8
	ds_store_2addr_b32 v70, v59, v52 offset1:8
	ds_store_2addr_b32 v71, v60, v53 offset1:8
	ds_store_2addr_b32 v72, v61, v54 offset1:8
	ds_store_2addr_b32 v73, v62, v57 offset1:8
	ds_store_2addr_b32 v74, v49, v58 offset1:8
	ds_store_2addr_b32 v75, v67, v48 offset1:8
	v_and_or_b32 v49, 0x7e0, v4, v32
	v_and_or_b32 v4, 0x1e0, v6, v32
	global_wb scope:SCOPE_SE
	s_wait_dscnt 0x0
	s_barrier_signal -1
	s_barrier_wait -1
	global_inv scope:SCOPE_SE
	v_lshl_add_u32 v58, v5, 2, v19
	v_lshl_add_u32 v59, v4, 2, v19
	ds_load_2addr_b32 v[4:5], v14 offset0:16 offset1:240
	v_lshlrev_b32_e32 v65, 3, v32
	v_and_or_b32 v6, 0x3e0, v7, v32
	v_and_or_b32 v7, 0x3e0, v8, v32
	;; [unrolled: 1-line block ×4, first 2 shown]
	global_load_b64 v[47:48], v65, s[4:5] offset:112
	v_and_or_b32 v21, 0x7e0, v22, v32
	v_and_or_b32 v22, 0x7e0, v23, v32
	v_lshl_add_u32 v62, v8, 2, v19
	v_lshl_add_u32 v64, v9, 2, v19
	ds_load_2addr_b32 v[8:9], v16 offset0:64 offset1:176
	v_lshl_add_u32 v60, v6, 2, v19
	v_lshl_add_u32 v61, v7, 2, v19
	ds_load_2addr_b32 v[6:7], v12 offset0:96 offset1:208
	v_lshl_add_u32 v65, v21, 2, v19
	v_lshl_add_u32 v66, v22, 2, v19
	;; [unrolled: 1-line block ×3, first 2 shown]
	ds_load_2addr_b32 v[21:22], v34 offset0:112 offset1:224
	ds_load_2addr_b32 v[49:50], v31 offset0:32 offset1:144
	ds_load_2addr_b32 v[51:52], v13 offset0:80 offset1:192
	ds_load_2addr_b32 v[53:54], v10 offset0:48 offset1:160
	ds_load_2addr_b32 v[55:56], v15 offset1:112
	ds_load_b32 v23, v35
	ds_load_b32 v68, v17
	global_wb scope:SCOPE_SE
	s_wait_loadcnt_dscnt 0x0
	s_barrier_signal -1
	s_barrier_wait -1
	global_inv scope:SCOPE_SE
	v_and_b32_e32 v24, 31, v18
	v_mul_f32_e32 v70, v26, v48
	v_mul_f32_e32 v85, v45, v48
	;; [unrolled: 1-line block ×4, first 2 shown]
	s_delay_alu instid0(VALU_DEP_4) | instskip(NEXT) | instid1(VALU_DEP_4)
	v_dual_mul_f32 v71, v6, v48 :: v_dual_fmac_f32 v70, v5, v47
	v_fmac_f32_e32 v85, v55, v47
	v_mul_f32_e32 v69, v5, v48
	v_mul_f32_e32 v72, v29, v48
	;; [unrolled: 1-line block ×12, first 2 shown]
	v_dual_mul_f32 v48, v46, v48 :: v_dual_fmac_f32 v77, v8, v47
	v_fma_f32 v8, v40, v47, -v78
	v_sub_f32_e32 v40, v23, v70
	v_sub_f32_e32 v70, v4, v85
	v_fma_f32 v26, v26, v47, -v69
	v_fma_f32 v5, v29, v47, -v71
	v_fmac_f32_e32 v72, v6, v47
	v_fma_f32 v6, v30, v47, -v73
	v_fmac_f32_e32 v74, v7, v47
	v_fma_f32 v7, v39, v47, -v75
	v_fmac_f32_e32 v81, v49, v47
	v_fmac_f32_e32 v83, v50, v47
	v_fma_f32 v39, v46, v47, -v86
	v_fmac_f32_e32 v48, v56, v47
	v_fmac_f32_e32 v79, v9, v47
	v_fma_f32 v9, v43, v47, -v80
	v_fma_f32 v29, v44, v47, -v82
	;; [unrolled: 1-line block ×3, first 2 shown]
	v_sub_f32_e32 v48, v68, v48
	v_sub_f32_e32 v26, v63, v26
	;; [unrolled: 1-line block ×3, first 2 shown]
	v_dual_sub_f32 v47, v21, v72 :: v_dual_sub_f32 v6, v28, v6
	v_sub_f32_e32 v49, v22, v74
	v_dual_sub_f32 v7, v36, v7 :: v_dual_sub_f32 v8, v37, v8
	v_sub_f32_e32 v9, v41, v9
	;; [unrolled: 2-line block ×3, first 2 shown]
	v_dual_sub_f32 v30, v25, v30 :: v_dual_and_b32 v57, 31, v20
	v_sub_f32_e32 v29, v42, v29
	v_fma_f32 v43, v63, 2.0, -v26
	v_fma_f32 v63, v23, 2.0, -v40
	;; [unrolled: 1-line block ×7, first 2 shown]
	v_sub_f32_e32 v50, v51, v77
	v_fma_f32 v36, v37, 2.0, -v8
	v_fma_f32 v37, v41, 2.0, -v9
	;; [unrolled: 1-line block ×8, first 2 shown]
	ds_store_2addr_b32 v58, v43, v26 offset1:16
	ds_store_2addr_b32 v59, v23, v5 offset1:16
	;; [unrolled: 1-line block ×9, first 2 shown]
	global_wb scope:SCOPE_SE
	s_wait_dscnt 0x0
	s_barrier_signal -1
	s_barrier_wait -1
	global_inv scope:SCOPE_SE
	ds_load_2addr_b32 v[4:5], v10 offset0:48 offset1:160
	ds_load_2addr_b32 v[22:23], v16 offset0:64 offset1:176
	;; [unrolled: 1-line block ×4, first 2 shown]
	ds_load_b32 v21, v35
	ds_load_b32 v71, v17
	ds_load_2addr_b32 v[36:37], v31 offset0:32 offset1:144
	ds_load_2addr_b32 v[8:9], v13 offset0:80 offset1:192
	ds_load_2addr_b32 v[43:44], v12 offset0:96 offset1:208
	ds_load_2addr_b32 v[45:46], v15 offset1:112
	v_dual_sub_f32 v55, v52, v79 :: v_dual_lshlrev_b32 v32, 4, v57
	v_fma_f32 v51, v51, 2.0, -v50
	v_fma_f32 v68, v68, 2.0, -v48
	global_wb scope:SCOPE_SE
	s_wait_dscnt 0x0
	v_fma_f32 v52, v52, 2.0, -v55
	s_barrier_signal -1
	s_barrier_wait -1
	global_inv scope:SCOPE_SE
	ds_store_2addr_b32 v58, v63, v40 offset1:16
	ds_store_2addr_b32 v59, v27, v47 offset1:16
	;; [unrolled: 1-line block ×9, first 2 shown]
	global_wb scope:SCOPE_SE
	s_wait_dscnt 0x0
	s_barrier_signal -1
	s_barrier_wait -1
	global_inv scope:SCOPE_SE
	global_load_b128 v[25:28], v32, s[4:5] offset:240
	v_and_b32_e32 v32, 31, v0
	v_and_b32_e32 v55, 31, v1
	v_lshlrev_b32_e32 v53, 4, v24
	v_add_nc_u32_e32 v56, 0xffffffa0, v0
	v_lshrrev_b32_e32 v58, 5, v1
	v_lshlrev_b32_e32 v39, 4, v32
	v_lshlrev_b32_e32 v49, 4, v55
	s_clause 0x5
	global_load_b64 v[47:48], v53, s[4:5] offset:240
	global_load_b128 v[39:42], v39, s[4:5] offset:240
	global_load_b32 v69, v49, s[4:5] offset:240
	global_load_b64 v[49:50], v53, s[4:5] offset:248
	global_load_b64 v[51:52], v53, s[4:5] offset:244
	global_load_b32 v70, v53, s[4:5] offset:252
	v_lshrrev_b32_e32 v59, 5, v33
	v_lshrrev_b32_e32 v60, 5, v20
	s_wait_alu 0xf1ff
	v_cndmask_b32_e64 v94, v56, v0, s0
	v_and_b32_e32 v56, 0xff, v1
	v_and_b32_e32 v63, 0xffff, v33
	v_lshrrev_b32_e32 v53, 5, v0
	v_lshrrev_b32_e32 v61, 5, v11
	;; [unrolled: 1-line block ×3, first 2 shown]
	v_mul_u32_u24_e32 v58, 0x60, v58
	v_mul_u32_u24_e32 v59, 0x60, v59
	;; [unrolled: 1-line block ×3, first 2 shown]
	v_mul_lo_u16 v56, 0xab, v56
	v_mul_u32_u24_e32 v63, 0xaaab, v63
	v_and_b32_e32 v64, 0xffff, v20
	v_mul_u32_u24_e32 v53, 0x60, v53
	v_mul_u32_u24_e32 v61, 0x60, v61
	;; [unrolled: 1-line block ×3, first 2 shown]
	v_or_b32_e32 v55, v58, v55
	v_or_b32_e32 v58, v59, v32
	;; [unrolled: 1-line block ×3, first 2 shown]
	v_lshrrev_b16 v95, 14, v56
	v_lshrrev_b32_e32 v96, 22, v63
	v_mul_u32_u24_e32 v64, 0xaaab, v64
	v_or_b32_e32 v67, v53, v32
	v_or_b32_e32 v32, v61, v32
	v_or_b32_e32 v24, v62, v24
	v_lshl_add_u32 v74, v55, 2, v19
	v_lshl_add_u32 v75, v58, 2, v19
	v_mul_lo_u16 v55, 0x60, v95
	v_lshl_add_u32 v76, v57, 2, v19
	v_mul_lo_u16 v56, 0x60, v96
	ds_load_2addr_b32 v[57:58], v31 offset0:32 offset1:144
	v_and_b32_e32 v65, 0xffff, v11
	v_lshrrev_b32_e32 v97, 22, v64
	v_lshl_add_u32 v73, v67, 2, v19
	v_lshl_add_u32 v32, v32, 2, v19
	;; [unrolled: 1-line block ×3, first 2 shown]
	v_sub_nc_u16 v19, v1, v55
	v_sub_nc_u16 v60, v33, v56
	ds_load_2addr_b32 v[55:56], v14 offset0:16 offset1:240
	v_and_b32_e32 v66, 0xffff, v18
	v_mul_u32_u24_e32 v65, 0xaaab, v65
	v_mul_lo_u16 v59, 0x60, v97
	v_and_b32_e32 v99, 0xff, v19
	v_and_b32_e32 v100, 0xffff, v60
	v_mul_u32_u24_e32 v72, 0xaaab, v66
	v_lshrrev_b32_e32 v98, 22, v65
	v_sub_nc_u16 v78, v20, v59
	ds_load_2addr_b32 v[19:20], v10 offset0:48 offset1:160
	ds_load_2addr_b32 v[59:60], v16 offset0:64 offset1:176
	;; [unrolled: 1-line block ×3, first 2 shown]
	ds_load_b32 v80, v35
	ds_load_b32 v81, v17
	ds_load_2addr_b32 v[63:64], v13 offset0:80 offset1:192
	ds_load_2addr_b32 v[65:66], v12 offset0:96 offset1:208
	ds_load_2addr_b32 v[67:68], v15 offset1:112
	v_mov_b32_e32 v54, 0
	global_wb scope:SCOPE_SE
	s_wait_loadcnt_dscnt 0x0
	s_barrier_signal -1
	s_barrier_wait -1
	global_inv scope:SCOPE_SE
	v_mul_lo_u16 v77, 0x60, v98
	s_delay_alu instid0(VALU_DEP_1) | instskip(SKIP_4) | instid1(VALU_DEP_3)
	v_sub_nc_u16 v11, v11, v77
	v_mul_f32_e32 v83, v58, v28
	v_mul_f32_e32 v28, v37, v28
	;; [unrolled: 1-line block ×4, first 2 shown]
	v_fmac_f32_e32 v28, v58, v27
	s_delay_alu instid0(VALU_DEP_3)
	v_fma_f32 v30, v30, v25, -v82
	v_mul_f32_e32 v58, v60, v50
	v_mul_f32_e32 v50, v23, v50
	v_fmac_f32_e32 v26, v56, v25
	v_fma_f32 v25, v37, v27, -v83
	v_mul_f32_e32 v56, v5, v40
	v_fma_f32 v23, v23, v52, -v58
	v_fmac_f32_e32 v50, v60, v52
	v_mul_f32_e32 v27, v55, v48
	v_mul_f32_e32 v48, v29, v48
	v_fmac_f32_e32 v56, v20, v39
	v_mul_f32_e32 v58, v57, v42
	v_mul_f32_e32 v52, v36, v42
	v_fma_f32 v27, v29, v69, -v27
	v_mul_f32_e32 v29, v59, v42
	v_dual_fmac_f32 v48, v55, v69 :: v_dual_mul_f32 v55, v22, v42
	v_fma_f32 v36, v36, v41, -v58
	v_mul_f32_e32 v58, v66, v51
	s_delay_alu instid0(VALU_DEP_4) | instskip(SKIP_4) | instid1(VALU_DEP_4)
	v_fma_f32 v22, v22, v41, -v29
	v_mul_f32_e32 v29, v71, v40
	v_mul_f32_e32 v51, v44, v51
	v_dual_mul_f32 v37, v20, v40 :: v_dual_mul_f32 v60, v67, v42
	v_mul_f32_e32 v42, v45, v42
	v_fmac_f32_e32 v29, v81, v39
	v_mul_f32_e32 v69, v81, v40
	v_fmac_f32_e32 v51, v66, v47
	v_fma_f32 v5, v5, v39, -v37
	v_fmac_f32_e32 v52, v57, v41
	v_add_f32_e32 v66, v62, v29
	v_fma_f32 v69, v71, v39, -v69
	v_fmac_f32_e32 v55, v59, v41
	v_mul_f32_e32 v59, v65, v40
	v_dual_mul_f32 v40, v43, v40 :: v_dual_lshlrev_b32 v53, 1, v94
	v_fma_f32 v37, v45, v41, -v60
	v_fmac_f32_e32 v42, v67, v41
	s_delay_alu instid0(VALU_DEP_4) | instskip(NEXT) | instid1(VALU_DEP_4)
	v_fma_f32 v20, v43, v39, -v59
	v_dual_fmac_f32 v40, v65, v39 :: v_dual_mul_f32 v71, v68, v70
	v_mul_f32_e32 v70, v46, v70
	v_fma_f32 v39, v44, v47, -v58
	s_delay_alu instid0(VALU_DEP_4)
	v_add_f32_e32 v82, v9, v20
	v_add_f32_e32 v43, v21, v5
	v_fma_f32 v41, v46, v49, -v71
	v_add_f32_e32 v44, v5, v22
	v_add_f32_e32 v46, v80, v56
	;; [unrolled: 1-line block ×3, first 2 shown]
	v_dual_add_f32 v60, v69, v36 :: v_dual_sub_f32 v57, v48, v50
	v_add_f32_e32 v48, v48, v50
	s_delay_alu instid0(VALU_DEP_4) | instskip(SKIP_2) | instid1(VALU_DEP_4)
	v_dual_add_f32 v46, v46, v55 :: v_dual_sub_f32 v5, v5, v22
	v_add_f32_e32 v22, v43, v22
	v_sub_f32_e32 v43, v40, v42
	v_fma_f32 v48, -0.5, v48, v61
	v_fmac_f32_e32 v21, -0.5, v44
	v_add_f32_e32 v44, v64, v40
	v_dual_add_f32 v40, v40, v42 :: v_dual_add_f32 v59, v7, v69
	v_add_f32_e32 v47, v56, v55
	v_sub_f32_e32 v65, v29, v52
	s_delay_alu instid0(VALU_DEP_4)
	v_dual_add_f32 v29, v29, v52 :: v_dual_add_f32 v42, v44, v42
	v_sub_f32_e32 v67, v69, v36
	v_dual_add_f32 v81, v63, v26 :: v_dual_fmac_f32 v64, -0.5, v40
	v_add_f32_e32 v69, v30, v25
	v_dual_fmac_f32 v70, v68, v49 :: v_dual_lshlrev_b32 v79, 4, v99
	v_dual_sub_f32 v45, v56, v55 :: v_dual_add_f32 v50, v58, v50
	v_dual_add_f32 v49, v6, v27 :: v_dual_fmac_f32 v62, -0.5, v29
	v_add_f32_e32 v56, v27, v23
	v_add_f32_e32 v68, v8, v30
	v_dual_add_f32 v58, v19, v51 :: v_dual_add_f32 v83, v20, v37
	v_sub_f32_e32 v20, v20, v37
	v_add_f32_e32 v36, v59, v36
	v_fmac_f32_e32 v80, -0.5, v47
	s_delay_alu instid0(VALU_DEP_4)
	v_add_f32_e32 v40, v58, v70
	v_sub_f32_e32 v71, v26, v28
	v_dual_add_f32 v26, v26, v28 :: v_dual_add_f32 v47, v39, v41
	v_add_f32_e32 v28, v81, v28
	v_fma_f32 v8, -0.5, v69, v8
	v_lshlrev_b64_e32 v[53:54], 3, v[53:54]
	v_dual_sub_f32 v27, v27, v23 :: v_dual_add_f32 v52, v66, v52
	v_dual_sub_f32 v30, v30, v25 :: v_dual_add_f32 v55, v4, v39
	v_fma_f32 v6, -0.5, v56, v6
	v_fma_f32 v26, -0.5, v26, v63
	v_add_f32_e32 v23, v49, v23
	v_fmac_f32_e32 v4, -0.5, v47
	v_fmamk_f32 v47, v5, 0xbf5db3d7, v80
	v_dual_fmac_f32 v80, 0x3f5db3d7, v5 :: v_dual_sub_f32 v49, v51, v70
	v_add_f32_e32 v51, v51, v70
	v_fmamk_f32 v44, v71, 0x3f5db3d7, v8
	v_fmac_f32_e32 v8, 0xbf5db3d7, v71
	v_fmac_f32_e32 v9, -0.5, v83
	v_add_co_u32 v53, s0, s4, v53
	v_sub_f32_e32 v39, v39, v41
	v_fmac_f32_e32 v7, -0.5, v60
	v_fmamk_f32 v5, v57, 0x3f5db3d7, v6
	v_fmac_f32_e32 v6, 0xbf5db3d7, v57
	v_dual_add_f32 v25, v68, v25 :: v_dual_fmamk_f32 v56, v30, 0xbf5db3d7, v26
	v_fmac_f32_e32 v26, 0x3f5db3d7, v30
	v_fmamk_f32 v30, v43, 0x3f5db3d7, v9
	v_fmac_f32_e32 v9, 0xbf5db3d7, v43
	v_fmamk_f32 v43, v20, 0xbf5db3d7, v64
	v_dual_fmac_f32 v64, 0x3f5db3d7, v20 :: v_dual_fmac_f32 v19, -0.5, v51
	s_wait_alu 0xf1ff
	v_add_co_ci_u32_e64 v54, s0, s5, v54, s0
	v_add_f32_e32 v29, v82, v37
	v_add_f32_e32 v37, v55, v41
	v_fmamk_f32 v51, v27, 0xbf5db3d7, v48
	v_dual_fmac_f32 v48, 0x3f5db3d7, v27 :: v_dual_fmamk_f32 v41, v45, 0x3f5db3d7, v21
	v_fmac_f32_e32 v21, 0xbf5db3d7, v45
	v_fmamk_f32 v55, v67, 0xbf5db3d7, v62
	v_fmamk_f32 v20, v49, 0x3f5db3d7, v4
	;; [unrolled: 1-line block ×3, first 2 shown]
	v_fmac_f32_e32 v7, 0xbf5db3d7, v65
	v_dual_fmac_f32 v4, 0xbf5db3d7, v49 :: v_dual_fmamk_f32 v49, v39, 0xbf5db3d7, v19
	v_fmac_f32_e32 v19, 0x3f5db3d7, v39
	v_fmac_f32_e32 v62, 0x3f5db3d7, v67
	ds_store_2addr_b32 v73, v22, v41 offset1:32
	ds_store_b32 v73, v21 offset:256
	ds_store_2addr_b32 v74, v23, v5 offset1:32
	ds_store_b32 v74, v6 offset:256
	;; [unrolled: 2-line block ×6, first 2 shown]
	global_wb scope:SCOPE_SE
	s_wait_dscnt 0x0
	s_barrier_signal -1
	s_barrier_wait -1
	global_inv scope:SCOPE_SE
	ds_load_2addr_b32 v[6:7], v10 offset0:48 offset1:160
	ds_load_2addr_b32 v[36:37], v16 offset0:64 offset1:176
	;; [unrolled: 1-line block ×4, first 2 shown]
	ds_load_b32 v39, v35
	ds_load_b32 v61, v17
	ds_load_2addr_b32 v[88:89], v31 offset0:32 offset1:144
	ds_load_2addr_b32 v[4:5], v13 offset0:80 offset1:192
	;; [unrolled: 1-line block ×3, first 2 shown]
	ds_load_2addr_b32 v[92:93], v15 offset1:112
	global_wb scope:SCOPE_SE
	s_wait_dscnt 0x0
	s_barrier_signal -1
	s_barrier_wait -1
	global_inv scope:SCOPE_SE
	ds_store_2addr_b32 v73, v46, v47 offset1:32
	ds_store_b32 v73, v80 offset:256
	ds_store_2addr_b32 v74, v50, v51 offset1:32
	ds_store_b32 v74, v48 offset:256
	ds_store_2addr_b32 v75, v52, v55 offset1:32
	ds_store_b32 v75, v62 offset:256
	ds_store_2addr_b32 v76, v28, v56 offset1:32
	ds_store_b32 v76, v26 offset:256
	ds_store_2addr_b32 v32, v42, v43 offset1:32
	ds_store_b32 v32, v64 offset:256
	ds_store_2addr_b32 v24, v40, v49 offset1:32
	ds_store_b32 v24, v19 offset:256
	global_wb scope:SCOPE_SE
	s_wait_dscnt 0x0
	s_barrier_signal -1
	s_barrier_wait -1
	global_inv scope:SCOPE_SE
	global_load_b128 v[19:22], v[53:54], off offset:752
	v_lshlrev_b32_e32 v23, 4, v100
	global_load_b128 v[53:56], v79, s[4:5] offset:752
	v_lshrrev_b32_e32 v8, 22, v72
	ds_load_2addr_b32 v[63:64], v14 offset0:16 offset1:240
	v_and_b32_e32 v9, 0xffff, v78
	global_load_b128 v[70:73], v23, s[4:5] offset:752
	ds_load_2addr_b32 v[40:41], v16 offset0:64 offset1:176
	v_mul_lo_u16 v24, 0x60, v8
	v_cmp_lt_u32_e64 s0, 0x5f, v0
	v_lshlrev_b32_e32 v25, 4, v9
	v_mad_u32_u24 v46, 0x480, v98, 0
	v_mad_u32_u24 v8, 0x480, v8, 0
	v_sub_nc_u16 v18, v18, v24
	v_lshlrev_b32_e32 v24, 2, v94
	global_load_b128 v[74:77], v25, s[4:5] offset:752
	v_add_nc_u32_e32 v28, 0xa00, v34
	v_add_nc_u32_e32 v30, 0x1300, v34
	v_and_b32_e32 v18, 0xffff, v18
	v_mad_u32_u24 v32, 0x480, v97, 0
	v_lshlrev_b32_e32 v42, 2, v99
	v_add_nc_u32_e32 v26, 0x100, v34
	s_wait_loadcnt 0x3
	v_dual_mul_f32 v58, v36, v22 :: v_dual_mul_f32 v65, v7, v20
	s_wait_loadcnt 0x2
	v_dual_mul_f32 v59, v37, v56 :: v_dual_mul_f32 v60, v86, v54
	s_wait_dscnt 0x0
	s_delay_alu instid0(VALU_DEP_2) | instskip(SKIP_1) | instid1(VALU_DEP_2)
	v_dual_fmac_f32 v58, v40, v21 :: v_dual_and_b32 v11, 0xffff, v11
	s_wait_loadcnt 0x1
	v_dual_mul_f32 v50, v88, v73 :: v_dual_fmac_f32 v59, v41, v55
	s_delay_alu instid0(VALU_DEP_2)
	v_dual_fmac_f32 v60, v63, v53 :: v_dual_lshlrev_b32 v23, 4, v11
	v_lshlrev_b32_e32 v47, 2, v11
	ds_load_2addr_b32 v[10:11], v10 offset0:48 offset1:160
	v_lshlrev_b32_e32 v43, 2, v100
	global_load_b128 v[78:81], v23, s[4:5] offset:752
	v_lshlrev_b32_e32 v23, 4, v18
	v_lshlrev_b32_e32 v18, 2, v18
	s_wait_loadcnt 0x1
	v_mul_f32_e32 v52, v89, v77
	v_add3_u32 v46, v46, v47, v38
	v_mul_f32_e32 v51, v87, v75
	global_load_b128 v[82:85], v23, s[4:5] offset:752
	ds_load_b32 v48, v35
	ds_load_b32 v62, v17
	ds_load_2addr_b32 v[16:17], v31 offset0:32 offset1:144
	s_wait_alu 0xf1ff
	v_cndmask_b32_e64 v23, 0, 0x480, s0
	v_add3_u32 v47, v8, v18, v38
	v_fmac_f32_e32 v51, v64, v74
	v_cmp_gt_u32_e64 s0, 64, v0
	s_wait_dscnt 0x3
	v_dual_mul_f32 v18, v11, v20 :: v_dual_add_nc_u32 v23, 0, v23
	v_mul_f32_e32 v20, v40, v22
	v_mul_f32_e32 v22, v63, v54
	s_delay_alu instid0(VALU_DEP_3) | instskip(NEXT) | instid1(VALU_DEP_3)
	v_fma_f32 v67, v7, v19, -v18
	v_fma_f32 v68, v36, v21, -v20
	s_delay_alu instid0(VALU_DEP_3)
	v_fma_f32 v69, v86, v53, -v22
	v_add_nc_u32_e32 v27, 0x600, v34
	s_wait_dscnt 0x1
	v_dual_mul_f32 v54, v62, v71 :: v_dual_add_nc_u32 v29, 0xf00, v34
	s_wait_dscnt 0x0
	v_fmac_f32_e32 v52, v17, v76
	v_add3_u32 v25, v23, v24, v38
	v_mad_u32_u24 v24, 0x480, v96, 0
	v_mul_f32_e32 v57, v61, v71
	v_fma_f32 v61, v61, v70, -v54
	v_dual_sub_f32 v22, v51, v52 :: v_dual_lshlrev_b32 v9, 2, v9
	s_delay_alu instid0(VALU_DEP_4) | instskip(SKIP_1) | instid1(VALU_DEP_3)
	v_add3_u32 v43, v24, v43, v38
	v_fmac_f32_e32 v50, v16, v72
	v_add3_u32 v32, v32, v9, v38
	s_wait_loadcnt 0x1
	v_mul_f32_e32 v40, v90, v79
	v_and_b32_e32 v23, 0xffff, v95
	s_delay_alu instid0(VALU_DEP_1) | instskip(SKIP_2) | instid1(VALU_DEP_2)
	v_mad_u32_u24 v23, 0x480, v23, 0
	s_wait_loadcnt 0x0
	v_mul_f32_e32 v49, v91, v83
	v_add3_u32 v42, v23, v42, v38
	ds_load_2addr_b32 v[23:24], v34 offset0:112 offset1:224
	ds_load_2addr_b32 v[8:9], v13 offset0:80 offset1:192
	;; [unrolled: 1-line block ×3, first 2 shown]
	ds_load_2addr_b32 v[14:15], v15 offset1:112
	v_mul_f32_e32 v38, v41, v56
	v_mul_f32_e32 v56, v16, v73
	;; [unrolled: 1-line block ×3, first 2 shown]
	global_wb scope:SCOPE_SE
	s_wait_dscnt 0x0
	s_barrier_signal -1
	v_fma_f32 v66, v37, v55, -v38
	v_mul_f32_e32 v7, v92, v81
	v_fma_f32 v63, v88, v72, -v56
	s_barrier_wait -1
	global_inv scope:SCOPE_SE
	v_mul_f32_e32 v18, v12, v79
	v_dual_mul_f32 v20, v13, v83 :: v_dual_mul_f32 v21, v15, v85
	v_dual_fmac_f32 v40, v12, v78 :: v_dual_fmac_f32 v7, v14, v80
	s_delay_alu instid0(VALU_DEP_3) | instskip(SKIP_1) | instid1(VALU_DEP_4)
	v_fma_f32 v53, v90, v78, -v18
	v_mul_f32_e32 v71, v64, v75
	v_fma_f32 v54, v91, v82, -v20
	v_fmac_f32_e32 v49, v13, v82
	v_fma_f32 v56, v93, v84, -v21
	v_dual_add_f32 v36, v5, v53 :: v_dual_fmac_f32 v41, v15, v84
	v_fmac_f32_e32 v65, v11, v19
	v_dual_mul_f32 v11, v17, v77 :: v_dual_sub_f32 v38, v40, v7
	v_mul_f32_e32 v19, v14, v81
	s_delay_alu instid0(VALU_DEP_4) | instskip(SKIP_1) | instid1(VALU_DEP_4)
	v_dual_sub_f32 v72, v49, v41 :: v_dual_fmac_f32 v57, v62, v70
	v_fma_f32 v62, v87, v74, -v71
	v_fma_f32 v64, v89, v76, -v11
	s_delay_alu instid0(VALU_DEP_4)
	v_fma_f32 v55, v92, v80, -v19
	v_add_f32_e32 v71, v54, v56
	v_add_f32_e32 v12, v67, v68
	v_dual_add_f32 v14, v44, v69 :: v_dual_add_f32 v15, v69, v66
	v_add_f32_e32 v17, v45, v61
	v_add_f32_e32 v18, v61, v63
	v_dual_add_f32 v20, v4, v62 :: v_dual_add_f32 v21, v62, v64
	v_dual_add_f32 v37, v53, v55 :: v_dual_add_f32 v70, v6, v54
	v_dual_fmac_f32 v6, -0.5, v71 :: v_dual_sub_f32 v13, v65, v58
	s_delay_alu instid0(VALU_DEP_4) | instskip(NEXT) | instid1(VALU_DEP_4)
	v_fmac_f32_e32 v45, -0.5, v18
	v_fma_f32 v18, -0.5, v21, v4
	s_delay_alu instid0(VALU_DEP_4)
	v_fmac_f32_e32 v5, -0.5, v37
	v_add_f32_e32 v11, v39, v67
	v_dual_fmac_f32 v39, -0.5, v12 :: v_dual_add_f32 v12, v14, v66
	v_fma_f32 v14, -0.5, v15, v44
	v_add_f32_e32 v15, v17, v63
	v_add_f32_e32 v17, v20, v64
	;; [unrolled: 1-line block ×4, first 2 shown]
	v_sub_f32_e32 v16, v60, v59
	v_dual_fmamk_f32 v36, v72, 0x3f5db3d7, v6 :: v_dual_sub_f32 v19, v57, v50
	v_fmamk_f32 v21, v13, 0x3f5db3d7, v39
	v_fmac_f32_e32 v39, 0xbf5db3d7, v13
	s_delay_alu instid0(VALU_DEP_4)
	v_fmamk_f32 v13, v16, 0x3f5db3d7, v14
	v_fmac_f32_e32 v14, 0xbf5db3d7, v16
	v_fmamk_f32 v16, v19, 0x3f5db3d7, v45
	v_fmac_f32_e32 v45, 0xbf5db3d7, v19
	;; [unrolled: 2-line block ×3, first 2 shown]
	v_dual_fmamk_f32 v22, v38, 0x3f5db3d7, v5 :: v_dual_add_f32 v11, v11, v68
	v_dual_fmac_f32 v5, 0xbf5db3d7, v38 :: v_dual_fmac_f32 v6, 0xbf5db3d7, v72
	ds_store_2addr_b32 v25, v11, v21 offset1:96
	ds_store_b32 v25, v39 offset:768
	ds_store_2addr_b32 v42, v12, v13 offset1:96
	ds_store_b32 v42, v14 offset:768
	;; [unrolled: 2-line block ×6, first 2 shown]
	global_wb scope:SCOPE_SE
	s_wait_dscnt 0x0
	s_barrier_signal -1
	s_barrier_wait -1
	global_inv scope:SCOPE_SE
	ds_load_2addr_b32 v[11:12], v26 offset0:48 offset1:224
	ds_load_2addr_b32 v[13:14], v27 offset0:16 offset1:192
	;; [unrolled: 1-line block ×6, first 2 shown]
	ds_load_b32 v44, v35
	ds_load_b32 v45, v34 offset:7360
                                        ; implicit-def: $vgpr38
                                        ; implicit-def: $vgpr39
                                        ; implicit-def: $vgpr37
	s_and_saveexec_b32 s1, s0
	s_cbranch_execz .LBB0_15
; %bb.14:
	ds_load_b32 v5, v34 offset:896
	ds_load_b32 v4, v34 offset:2048
	;; [unrolled: 1-line block ×7, first 2 shown]
.LBB0_15:
	s_wait_alu 0xfffe
	s_or_b32 exec_lo, exec_lo, s1
	v_dual_add_f32 v70, v65, v58 :: v_dual_add_f32 v65, v48, v65
	v_dual_sub_f32 v67, v67, v68 :: v_dual_add_f32 v68, v60, v59
	v_sub_f32_e32 v66, v69, v66
	v_add_f32_e32 v60, v23, v60
	s_delay_alu instid0(VALU_DEP_4)
	v_fmac_f32_e32 v48, -0.5, v70
	v_add_f32_e32 v58, v65, v58
	v_fma_f32 v23, -0.5, v68, v23
	global_wb scope:SCOPE_SE
	s_wait_dscnt 0x0
	v_dual_add_f32 v59, v60, v59 :: v_dual_add_f32 v60, v57, v50
	v_fmamk_f32 v65, v67, 0xbf5db3d7, v48
	v_fmac_f32_e32 v48, 0x3f5db3d7, v67
	v_fmamk_f32 v67, v66, 0xbf5db3d7, v23
	v_fmac_f32_e32 v23, 0x3f5db3d7, v66
	v_dual_add_f32 v57, v24, v57 :: v_dual_add_f32 v66, v51, v52
	v_dual_add_f32 v51, v8, v51 :: v_dual_fmac_f32 v24, -0.5, v60
	v_sub_f32_e32 v60, v61, v63
	s_delay_alu instid0(VALU_DEP_3) | instskip(NEXT) | instid1(VALU_DEP_3)
	v_dual_add_f32 v50, v57, v50 :: v_dual_sub_f32 v57, v62, v64
	v_dual_add_f32 v51, v51, v52 :: v_dual_add_f32 v52, v40, v7
	s_delay_alu instid0(VALU_DEP_3) | instskip(SKIP_4) | instid1(VALU_DEP_4)
	v_fmamk_f32 v61, v60, 0xbf5db3d7, v24
	v_fma_f32 v8, -0.5, v66, v8
	v_fmac_f32_e32 v24, 0x3f5db3d7, v60
	v_add_f32_e32 v40, v9, v40
	v_dual_fmac_f32 v9, -0.5, v52 :: v_dual_sub_f32 v52, v53, v55
	v_fmamk_f32 v60, v57, 0xbf5db3d7, v8
	s_delay_alu instid0(VALU_DEP_3)
	v_dual_fmac_f32 v8, 0x3f5db3d7, v57 :: v_dual_add_f32 v7, v40, v7
	v_add_f32_e32 v57, v49, v41
	v_add_f32_e32 v49, v10, v49
	v_sub_f32_e32 v53, v54, v56
	s_barrier_signal -1
	s_barrier_wait -1
	v_fmac_f32_e32 v10, -0.5, v57
	v_fmamk_f32 v54, v52, 0xbf5db3d7, v9
	v_dual_fmac_f32 v9, 0x3f5db3d7, v52 :: v_dual_add_f32 v40, v49, v41
	global_inv scope:SCOPE_SE
	v_fmamk_f32 v41, v53, 0xbf5db3d7, v10
	v_fmac_f32_e32 v10, 0x3f5db3d7, v53
	ds_store_2addr_b32 v25, v58, v65 offset1:96
	ds_store_b32 v25, v48 offset:768
	ds_store_2addr_b32 v42, v59, v67 offset1:96
	ds_store_b32 v42, v23 offset:768
	;; [unrolled: 2-line block ×6, first 2 shown]
	global_wb scope:SCOPE_SE
	s_wait_dscnt 0x0
	s_barrier_signal -1
	s_barrier_wait -1
	global_inv scope:SCOPE_SE
	ds_load_2addr_b32 v[7:8], v26 offset0:48 offset1:224
	ds_load_2addr_b32 v[23:24], v27 offset0:16 offset1:192
	;; [unrolled: 1-line block ×6, first 2 shown]
	ds_load_b32 v46, v35
	ds_load_b32 v47, v34 offset:7360
                                        ; implicit-def: $vgpr35
                                        ; implicit-def: $vgpr43
                                        ; implicit-def: $vgpr42
	s_and_saveexec_b32 s1, s0
	s_cbranch_execz .LBB0_17
; %bb.16:
	ds_load_b32 v9, v34 offset:896
	ds_load_b32 v40, v34 offset:2048
	ds_load_b32 v41, v34 offset:3200
	ds_load_b32 v10, v34 offset:4352
	ds_load_b32 v35, v34 offset:5504
	ds_load_b32 v42, v34 offset:6656
	ds_load_b32 v43, v34 offset:7808
.LBB0_17:
	s_wait_alu 0xfffe
	s_or_b32 exec_lo, exec_lo, s1
	s_and_saveexec_b32 s1, vcc_lo
	s_cbranch_execz .LBB0_20
; %bb.18:
	v_mul_u32_u24_e32 v1, 6, v1
	v_mul_u32_u24_e32 v34, 6, v0
	v_add_co_u32 v2, vcc_lo, s8, v2
	s_wait_alu 0xfffd
	v_add_co_ci_u32_e32 v3, vcc_lo, s9, v3, vcc_lo
	v_lshlrev_b32_e32 v1, 3, v1
	s_clause 0x2
	global_load_b128 v[48:51], v1, s[4:5] offset:2288
	global_load_b128 v[52:55], v1, s[4:5] offset:2320
	;; [unrolled: 1-line block ×3, first 2 shown]
	s_wait_loadcnt_dscnt 0x206
	v_dual_mul_f32 v34, v23, v49 :: v_dual_lshlrev_b32 v1, 3, v34
	s_clause 0x2
	global_load_b128 v[60:63], v1, s[4:5] offset:2288
	global_load_b128 v[64:67], v1, s[4:5] offset:2320
	;; [unrolled: 1-line block ×3, first 2 shown]
	s_wait_loadcnt_dscnt 0x304
	v_dual_mov_b32 v1, 0 :: v_dual_mul_f32 v74, v27, v57
	v_mul_f32_e32 v75, v25, v51
	v_mul_f32_e32 v49, v13, v49
	v_fma_f32 v13, v13, v48, -v34
	s_delay_alu instid0(VALU_DEP_4) | instskip(SKIP_2) | instid1(VALU_DEP_2)
	v_lshlrev_b64_e32 v[72:73], 3, v[0:1]
	s_wait_dscnt 0x2
	v_mul_f32_e32 v76, v31, v53
	v_add_co_u32 v2, vcc_lo, v2, v72
	s_wait_dscnt 0x0
	v_mul_f32_e32 v72, v47, v55
	v_mul_f32_e32 v55, v45, v55
	s_wait_alu 0xfffd
	v_add_co_ci_u32_e32 v3, vcc_lo, v3, v73, vcc_lo
	v_mul_f32_e32 v73, v29, v59
	v_fma_f32 v34, v45, v54, -v72
	v_mul_f32_e32 v57, v19, v57
	v_fma_f32 v19, v19, v56, -v74
	s_wait_loadcnt 0x1
	v_mul_f32_e32 v78, v32, v67
	s_wait_loadcnt 0x0
	v_mul_f32_e32 v80, v26, v69
	v_mul_f32_e32 v69, v16, v69
	;; [unrolled: 1-line block ×3, first 2 shown]
	s_delay_alu instid0(VALU_DEP_3) | instskip(NEXT) | instid1(VALU_DEP_3)
	v_fma_f32 v16, v16, v68, -v80
	v_fmac_f32_e32 v69, v26, v68
	v_mul_f32_e32 v67, v22, v67
	v_mul_f32_e32 v65, v18, v65
	v_fma_f32 v18, v18, v64, -v82
	v_fma_f32 v22, v22, v66, -v78
	s_delay_alu instid0(VALU_DEP_4) | instskip(SKIP_3) | instid1(VALU_DEP_2)
	v_fmac_f32_e32 v67, v32, v66
	v_mul_f32_e32 v77, v8, v61
	v_mul_f32_e32 v61, v12, v61
	v_fmac_f32_e32 v65, v30, v64
	v_dual_fmac_f32 v61, v8, v60 :: v_dual_sub_f32 v8, v13, v34
	v_add_f32_e32 v13, v13, v34
	v_fmac_f32_e32 v57, v27, v56
	v_mul_f32_e32 v79, v28, v71
	v_mul_f32_e32 v71, v20, v71
	v_add_f32_e32 v32, v61, v67
	v_fma_f32 v12, v12, v60, -v77
	v_mul_f32_e32 v51, v15, v51
	v_fma_f32 v20, v20, v70, -v79
	v_mul_f32_e32 v53, v21, v53
	v_fma_f32 v15, v15, v50, -v75
	v_fma_f32 v21, v21, v52, -v76
	v_mul_f32_e32 v59, v17, v59
	v_fma_f32 v17, v17, v58, -v73
	v_sub_f32_e32 v30, v20, v16
	v_fmac_f32_e32 v53, v31, v52
	v_mul_f32_e32 v81, v24, v63
	v_mul_f32_e32 v63, v14, v63
	v_fmac_f32_e32 v49, v23, v48
	v_dual_add_f32 v16, v20, v16 :: v_dual_sub_f32 v23, v17, v19
	s_delay_alu instid0(VALU_DEP_3)
	v_dual_fmac_f32 v63, v24, v62 :: v_dual_sub_f32 v24, v15, v21
	v_fmac_f32_e32 v59, v29, v58
	v_sub_f32_e32 v29, v12, v22
	v_add_f32_e32 v12, v12, v22
	v_fmac_f32_e32 v51, v25, v50
	v_add_f32_e32 v45, v63, v65
	v_dual_sub_f32 v22, v63, v65 :: v_dual_fmac_f32 v71, v28, v70
	s_delay_alu instid0(VALU_DEP_3)
	v_dual_sub_f32 v60, v12, v16 :: v_dual_add_f32 v27, v51, v53
	v_sub_f32_e32 v48, v23, v24
	v_add_f32_e32 v26, v59, v57
	v_fmac_f32_e32 v55, v47, v54
	v_sub_f32_e32 v47, v8, v23
	v_add_f32_e32 v23, v23, v24
	v_sub_f32_e32 v24, v24, v8
	v_sub_f32_e32 v28, v51, v53
	v_fma_f32 v14, v14, v62, -v81
	v_add_f32_e32 v17, v17, v19
	v_dual_sub_f32 v50, v26, v27 :: v_dual_add_f32 v15, v15, v21
	s_delay_alu instid0(VALU_DEP_3) | instskip(SKIP_1) | instid1(VALU_DEP_4)
	v_sub_f32_e32 v31, v14, v18
	v_add_f32_e32 v14, v14, v18
	v_sub_f32_e32 v52, v13, v17
	v_sub_f32_e32 v19, v49, v55
	v_add_f32_e32 v54, v13, v15
	s_delay_alu instid0(VALU_DEP_4) | instskip(SKIP_2) | instid1(VALU_DEP_2)
	v_dual_sub_f32 v53, v17, v15 :: v_dual_add_f32 v62, v12, v14
	v_add_f32_e32 v34, v71, v69
	v_sub_f32_e32 v13, v15, v13
	v_dual_sub_f32 v15, v28, v19 :: v_dual_sub_f32 v58, v34, v45
	v_dual_sub_f32 v20, v71, v69 :: v_dual_add_f32 v25, v49, v55
	s_delay_alu instid0(VALU_DEP_1) | instskip(SKIP_3) | instid1(VALU_DEP_4)
	v_dual_sub_f32 v64, v20, v22 :: v_dual_add_f32 v51, v25, v27
	v_sub_f32_e32 v21, v59, v57
	v_sub_f32_e32 v49, v25, v26
	;; [unrolled: 1-line block ×3, first 2 shown]
	v_dual_sub_f32 v27, v29, v30 :: v_dual_add_f32 v26, v26, v51
	s_delay_alu instid0(VALU_DEP_4) | instskip(SKIP_1) | instid1(VALU_DEP_1)
	v_dual_sub_f32 v55, v19, v21 :: v_dual_sub_f32 v56, v21, v28
	v_dual_add_f32 v21, v21, v28 :: v_dual_sub_f32 v28, v30, v31
	v_mul_f32_e32 v28, 0xbf08b237, v28
	v_add_f32_e32 v30, v30, v31
	v_sub_f32_e32 v18, v61, v67
	s_delay_alu instid0(VALU_DEP_1) | instskip(SKIP_1) | instid1(VALU_DEP_2)
	v_dual_sub_f32 v63, v18, v20 :: v_dual_add_f32 v20, v20, v22
	v_sub_f32_e32 v22, v22, v18
	v_dual_sub_f32 v57, v32, v34 :: v_dual_add_f32 v18, v18, v20
	v_mul_f32_e32 v51, 0x3d64c772, v53
	v_mul_f32_e32 v53, 0xbf08b237, v56
	v_dual_mul_f32 v56, 0x3d64c772, v58 :: v_dual_add_f32 v59, v32, v45
	v_sub_f32_e32 v32, v45, v32
	v_mul_f32_e32 v58, 0x3f4a47b2, v60
	s_delay_alu instid0(VALU_DEP_3)
	v_add_f32_e32 v34, v34, v59
	v_add_f32_e32 v23, v8, v23
	v_dual_sub_f32 v61, v16, v14 :: v_dual_sub_f32 v14, v14, v12
	v_mul_f32_e32 v12, 0xbf08b237, v48
	v_mul_f32_e32 v48, 0x3d64c772, v50
	;; [unrolled: 1-line block ×3, first 2 shown]
	v_add_f32_e32 v16, v16, v62
	v_dual_mul_f32 v62, 0x3f5ff5aa, v22 :: v_dual_add_f32 v19, v19, v21
	v_mul_f32_e32 v21, 0x3f5ff5aa, v24
	v_fma_f32 v24, 0x3f5ff5aa, v24, -v12
	v_add_f32_e32 v17, v17, v54
	v_add_f32_e32 v8, v7, v26
	v_dual_mul_f32 v54, 0x3f5ff5aa, v15 :: v_dual_sub_f32 v31, v31, v29
	s_delay_alu instid0(VALU_DEP_3) | instskip(NEXT) | instid1(VALU_DEP_2)
	v_dual_fmamk_f32 v52, v52, 0x3f4a47b2, v51 :: v_dual_add_f32 v7, v11, v17
	v_dual_add_f32 v11, v44, v16 :: v_dual_mul_f32 v20, 0x3f5ff5aa, v31
	s_delay_alu instid0(VALU_DEP_1) | instskip(SKIP_2) | instid1(VALU_DEP_1)
	v_fmamk_f32 v16, v16, 0xbf955555, v11
	v_mul_f32_e32 v59, 0x3d64c772, v61
	v_mul_f32_e32 v61, 0xbf08b237, v64
	v_dual_add_f32 v29, v29, v30 :: v_dual_fmamk_f32 v44, v63, 0x3eae86e6, v61
	v_mul_f32_e32 v30, 0x3f4a47b2, v57
	v_fma_f32 v21, 0xbeae86e6, v47, -v21
	v_fmamk_f32 v64, v47, 0x3eae86e6, v12
	v_add_f32_e32 v12, v46, v34
	v_fma_f32 v47, 0xbf3bfb3b, v13, -v50
	v_fma_f32 v50, 0xbeae86e6, v55, -v54
	v_dual_fmac_f32 v44, 0x3ee1c552, v18 :: v_dual_fmac_f32 v21, 0x3ee1c552, v23
	v_fmamk_f32 v65, v55, 0x3eae86e6, v53
	v_fma_f32 v55, 0x3f5ff5aa, v22, -v61
	v_fmamk_f32 v22, v26, 0xbf955555, v8
	v_mul_f32_e32 v45, 0x3f4a47b2, v49
	v_fmac_f32_e32 v50, 0x3ee1c552, v19
	v_fma_f32 v54, 0xbeae86e6, v63, -v62
	v_fma_f32 v13, 0x3f3bfb3b, v13, -v51
	v_fmamk_f32 v46, v60, 0x3f4a47b2, v59
	v_fma_f32 v45, 0xbf3bfb3b, v25, -v45
	v_fma_f32 v25, 0x3f3bfb3b, v25, -v48
	;; [unrolled: 1-line block ×3, first 2 shown]
	v_fmac_f32_e32 v24, 0x3ee1c552, v23
	v_fmac_f32_e32 v54, 0x3ee1c552, v18
	;; [unrolled: 1-line block ×3, first 2 shown]
	v_dual_add_f32 v18, v25, v22 :: v_dual_fmamk_f32 v51, v27, 0x3eae86e6, v28
	v_add_f32_e32 v28, v45, v22
	v_fmamk_f32 v17, v17, 0xbf955555, v7
	v_fmac_f32_e32 v64, 0x3ee1c552, v23
	v_dual_fmamk_f32 v49, v49, 0x3f4a47b2, v48 :: v_dual_add_f32 v46, v46, v16
	s_delay_alu instid0(VALU_DEP_3)
	v_add_f32_e32 v26, v52, v17
	v_fma_f32 v48, 0x3f5ff5aa, v15, -v53
	v_fma_f32 v53, 0xbeae86e6, v27, -v20
	;; [unrolled: 1-line block ×5, first 2 shown]
	v_dual_fmac_f32 v48, 0x3ee1c552, v19 :: v_dual_fmac_f32 v31, 0x3ee1c552, v29
	v_fmac_f32_e32 v53, 0x3ee1c552, v29
	v_add_f32_e32 v23, v49, v22
	v_add_f32_e32 v49, v14, v16
	v_dual_add_f32 v14, v21, v28 :: v_dual_fmac_f32 v65, 0x3ee1c552, v19
	v_fmamk_f32 v19, v34, 0xbf955555, v12
	v_fma_f32 v30, 0x3f3bfb3b, v32, -v56
	v_fmamk_f32 v15, v57, 0x3f4a47b2, v56
	v_add_f32_e32 v45, v27, v16
	v_sub_f32_e32 v16, v18, v24
	v_add_f32_e32 v18, v24, v18
	v_dual_add_f32 v32, v20, v19 :: v_dual_fmac_f32 v51, 0x3ee1c552, v29
	v_sub_f32_e32 v20, v28, v21
	v_add_f32_e32 v29, v47, v17
	s_delay_alu instid0(VALU_DEP_3) | instskip(SKIP_1) | instid1(VALU_DEP_2)
	v_dual_add_f32 v47, v30, v19 :: v_dual_sub_f32 v30, v32, v53
	v_dual_add_f32 v34, v15, v19 :: v_dual_add_f32 v17, v13, v17
	v_dual_sub_f32 v13, v29, v50 :: v_dual_sub_f32 v28, v47, v31
	v_add_f32_e32 v19, v50, v29
	v_add_f32_e32 v29, v54, v45
	;; [unrolled: 1-line block ×3, first 2 shown]
	v_sub_f32_e32 v22, v23, v64
	v_add_f32_e32 v24, v51, v34
	global_store_b64 v[2:3], v[11:12], off
	v_dual_add_f32 v12, v64, v23 :: v_dual_sub_f32 v23, v46, v44
	v_sub_f32_e32 v25, v45, v54
	v_dual_sub_f32 v45, v34, v51 :: v_dual_add_f32 v44, v44, v46
	v_add_f32_e32 v21, v65, v26
	v_sub_f32_e32 v11, v26, v65
	v_add_f32_e32 v15, v48, v17
	v_sub_f32_e32 v17, v17, v48
	v_add_f32_e32 v26, v53, v32
	v_add_f32_e32 v32, v31, v47
	v_sub_f32_e32 v31, v49, v55
	s_clause 0xc
	global_store_b64 v[2:3], v[29:30], off offset:4608
	global_store_b64 v[2:3], v[27:28], off offset:9216
	global_store_b64 v[2:3], v[7:8], off offset:896
	global_store_b64 v[2:3], v[44:45], off offset:2304
	global_store_b64 v[2:3], v[21:22], off offset:3200
	global_store_b64 v[2:3], v[19:20], off offset:5504
	global_store_b64 v[2:3], v[31:32], off offset:6912
	global_store_b64 v[2:3], v[17:18], off offset:7808
	global_store_b64 v[2:3], v[15:16], off offset:10112
	global_store_b64 v[2:3], v[25:26], off offset:11520
	global_store_b64 v[2:3], v[13:14], off offset:12416
	global_store_b64 v[2:3], v[23:24], off offset:13824
	global_store_b64 v[2:3], v[11:12], off offset:14720
	s_and_b32 exec_lo, exec_lo, s0
	s_cbranch_execz .LBB0_20
; %bb.19:
	v_subrev_nc_u32_e32 v0, 64, v0
	s_delay_alu instid0(VALU_DEP_1) | instskip(NEXT) | instid1(VALU_DEP_1)
	v_cndmask_b32_e64 v0, v0, v33, s0
	v_mul_i32_i24_e32 v0, 6, v0
	s_delay_alu instid0(VALU_DEP_1) | instskip(NEXT) | instid1(VALU_DEP_1)
	v_lshlrev_b64_e32 v[0:1], 3, v[0:1]
	v_add_co_u32 v0, vcc_lo, s4, v0
	s_wait_alu 0xfffd
	s_delay_alu instid0(VALU_DEP_2)
	v_add_co_ci_u32_e32 v1, vcc_lo, s5, v1, vcc_lo
	s_clause 0x2
	global_load_b128 v[11:14], v[0:1], off offset:2288
	global_load_b128 v[15:18], v[0:1], off offset:2304
	;; [unrolled: 1-line block ×3, first 2 shown]
	s_wait_loadcnt 0x2
	v_mul_f32_e32 v1, v4, v12
	v_dual_mul_f32 v0, v40, v12 :: v_dual_mul_f32 v7, v41, v14
	s_wait_loadcnt 0x0
	v_mul_f32_e32 v24, v43, v22
	v_mul_f32_e32 v22, v39, v22
	v_dual_mul_f32 v8, v36, v14 :: v_dual_mul_f32 v23, v42, v20
	v_mul_f32_e32 v12, v10, v16
	v_fma_f32 v0, v4, v11, -v0
	s_delay_alu instid0(VALU_DEP_4)
	v_fmac_f32_e32 v22, v43, v21
	v_mul_f32_e32 v14, v6, v16
	v_dual_mul_f32 v16, v35, v18 :: v_dual_fmac_f32 v1, v40, v11
	v_fma_f32 v4, v36, v13, -v7
	v_fmac_f32_e32 v8, v41, v13
	v_fma_f32 v6, v6, v15, -v12
	s_delay_alu instid0(VALU_DEP_4)
	v_fma_f32 v7, v38, v17, -v16
	v_mul_f32_e32 v20, v37, v20
	v_fma_f32 v11, v37, v19, -v23
	v_dual_add_f32 v13, v1, v22 :: v_dual_fmac_f32 v14, v10, v15
	v_sub_f32_e32 v1, v1, v22
	v_fma_f32 v10, v39, v21, -v24
	s_delay_alu instid0(VALU_DEP_1)
	v_add_f32_e32 v12, v0, v10
	v_sub_f32_e32 v0, v0, v10
	v_add_f32_e32 v10, v4, v11
	v_sub_f32_e32 v4, v4, v11
	v_add_f32_e32 v11, v6, v7
	v_fmac_f32_e32 v20, v42, v19
	v_mul_f32_e32 v18, v38, v18
	s_delay_alu instid0(VALU_DEP_2) | instskip(NEXT) | instid1(VALU_DEP_2)
	v_dual_sub_f32 v6, v7, v6 :: v_dual_add_f32 v15, v8, v20
	v_fmac_f32_e32 v18, v35, v17
	s_delay_alu instid0(VALU_DEP_1) | instskip(SKIP_2) | instid1(VALU_DEP_3)
	v_dual_add_f32 v17, v15, v13 :: v_dual_add_f32 v16, v14, v18
	v_dual_sub_f32 v7, v18, v14 :: v_dual_sub_f32 v8, v8, v20
	v_sub_f32_e32 v19, v15, v13
	v_sub_f32_e32 v13, v13, v16
	s_delay_alu instid0(VALU_DEP_3) | instskip(SKIP_1) | instid1(VALU_DEP_3)
	v_add_f32_e32 v21, v7, v8
	v_sub_f32_e32 v23, v7, v8
	v_dual_sub_f32 v18, v10, v12 :: v_dual_mul_f32 v13, 0x3f4a47b2, v13
	v_dual_sub_f32 v15, v16, v15 :: v_dual_add_f32 v14, v10, v12
	v_sub_f32_e32 v12, v12, v11
	v_dual_sub_f32 v10, v11, v10 :: v_dual_sub_f32 v7, v1, v7
	v_mul_f32_e32 v23, 0xbf08b237, v23
	s_delay_alu instid0(VALU_DEP_4) | instskip(SKIP_2) | instid1(VALU_DEP_3)
	v_dual_add_f32 v11, v11, v14 :: v_dual_add_f32 v14, v16, v17
	v_add_f32_e32 v17, v21, v1
	v_dual_sub_f32 v8, v8, v1 :: v_dual_mul_f32 v21, 0x3d64c772, v15
	v_dual_add_f32 v20, v6, v4 :: v_dual_add_f32 v1, v9, v14
	v_fmamk_f32 v9, v15, 0x3d64c772, v13
	s_delay_alu instid0(VALU_DEP_3) | instskip(NEXT) | instid1(VALU_DEP_4)
	v_mul_f32_e32 v25, 0x3f5ff5aa, v8
	v_fma_f32 v15, 0x3f3bfb3b, v19, -v21
	v_fma_f32 v13, 0xbf3bfb3b, v19, -v13
	v_fmamk_f32 v19, v7, 0x3eae86e6, v23
	v_fma_f32 v21, 0x3f5ff5aa, v8, -v23
	v_sub_f32_e32 v22, v6, v4
	v_fma_f32 v23, 0xbeae86e6, v7, -v25
	v_sub_f32_e32 v4, v4, v0
	v_add_f32_e32 v16, v20, v0
	v_mul_f32_e32 v12, 0x3f4a47b2, v12
	v_dual_fmac_f32 v19, 0x3ee1c552, v17 :: v_dual_sub_f32 v6, v0, v6
	v_mul_f32_e32 v20, 0x3d64c772, v10
	v_fmac_f32_e32 v21, 0x3ee1c552, v17
	v_mul_f32_e32 v22, 0xbf08b237, v22
	v_fmac_f32_e32 v23, 0x3ee1c552, v17
	v_mul_f32_e32 v24, 0x3f5ff5aa, v4
	v_dual_add_f32 v0, v5, v11 :: v_dual_fmamk_f32 v5, v10, 0x3d64c772, v12
	v_fma_f32 v10, 0x3f3bfb3b, v18, -v20
	v_fma_f32 v12, 0xbf3bfb3b, v18, -v12
	v_fmamk_f32 v18, v6, 0x3eae86e6, v22
	v_fma_f32 v20, 0x3f5ff5aa, v4, -v22
	v_fma_f32 v22, 0xbeae86e6, v6, -v24
	v_fmamk_f32 v6, v14, 0xbf955555, v1
	s_delay_alu instid0(VALU_DEP_1) | instskip(NEXT) | instid1(VALU_DEP_1)
	v_dual_fmac_f32 v22, 0x3ee1c552, v16 :: v_dual_add_f32 v13, v13, v6
	v_dual_sub_f32 v7, v13, v22 :: v_dual_fmac_f32 v18, 0x3ee1c552, v16
	v_fmac_f32_e32 v20, 0x3ee1c552, v16
	v_add_f32_e32 v16, v9, v6
	v_fmamk_f32 v4, v11, 0xbf955555, v0
	v_add_f32_e32 v11, v15, v6
	v_add_f32_e32 v13, v22, v13
	s_delay_alu instid0(VALU_DEP_4) | instskip(NEXT) | instid1(VALU_DEP_4)
	v_add_f32_e32 v15, v18, v16
	v_add_f32_e32 v14, v5, v4
	;; [unrolled: 1-line block ×3, first 2 shown]
	v_dual_add_f32 v10, v10, v4 :: v_dual_sub_f32 v5, v16, v18
	s_delay_alu instid0(VALU_DEP_3) | instskip(NEXT) | instid1(VALU_DEP_3)
	v_dual_add_f32 v9, v20, v11 :: v_dual_add_f32 v4, v19, v14
	v_add_f32_e32 v6, v23, v12
	s_delay_alu instid0(VALU_DEP_3)
	v_sub_f32_e32 v8, v10, v21
	v_dual_add_f32 v10, v21, v10 :: v_dual_sub_f32 v11, v11, v20
	v_sub_f32_e32 v12, v12, v23
	v_sub_f32_e32 v14, v14, v19
	s_clause 0x6
	global_store_b64 v[2:3], v[0:1], off offset:1792
	global_store_b64 v[2:3], v[4:5], off offset:4096
	;; [unrolled: 1-line block ×7, first 2 shown]
.LBB0_20:
	s_nop 0
	s_sendmsg sendmsg(MSG_DEALLOC_VGPRS)
	s_endpgm
	.section	.rodata,"a",@progbits
	.p2align	6, 0x0
	.amdhsa_kernel fft_rtc_fwd_len2016_factors_2_2_2_2_2_3_3_7_wgs_224_tpt_112_halfLds_sp_ip_CI_unitstride_sbrr_dirReg
		.amdhsa_group_segment_fixed_size 0
		.amdhsa_private_segment_fixed_size 0
		.amdhsa_kernarg_size 88
		.amdhsa_user_sgpr_count 2
		.amdhsa_user_sgpr_dispatch_ptr 0
		.amdhsa_user_sgpr_queue_ptr 0
		.amdhsa_user_sgpr_kernarg_segment_ptr 1
		.amdhsa_user_sgpr_dispatch_id 0
		.amdhsa_user_sgpr_private_segment_size 0
		.amdhsa_wavefront_size32 1
		.amdhsa_uses_dynamic_stack 0
		.amdhsa_enable_private_segment 0
		.amdhsa_system_sgpr_workgroup_id_x 1
		.amdhsa_system_sgpr_workgroup_id_y 0
		.amdhsa_system_sgpr_workgroup_id_z 0
		.amdhsa_system_sgpr_workgroup_info 0
		.amdhsa_system_vgpr_workitem_id 0
		.amdhsa_next_free_vgpr 101
		.amdhsa_next_free_sgpr 32
		.amdhsa_reserve_vcc 1
		.amdhsa_float_round_mode_32 0
		.amdhsa_float_round_mode_16_64 0
		.amdhsa_float_denorm_mode_32 3
		.amdhsa_float_denorm_mode_16_64 3
		.amdhsa_fp16_overflow 0
		.amdhsa_workgroup_processor_mode 1
		.amdhsa_memory_ordered 1
		.amdhsa_forward_progress 0
		.amdhsa_round_robin_scheduling 0
		.amdhsa_exception_fp_ieee_invalid_op 0
		.amdhsa_exception_fp_denorm_src 0
		.amdhsa_exception_fp_ieee_div_zero 0
		.amdhsa_exception_fp_ieee_overflow 0
		.amdhsa_exception_fp_ieee_underflow 0
		.amdhsa_exception_fp_ieee_inexact 0
		.amdhsa_exception_int_div_zero 0
	.end_amdhsa_kernel
	.text
.Lfunc_end0:
	.size	fft_rtc_fwd_len2016_factors_2_2_2_2_2_3_3_7_wgs_224_tpt_112_halfLds_sp_ip_CI_unitstride_sbrr_dirReg, .Lfunc_end0-fft_rtc_fwd_len2016_factors_2_2_2_2_2_3_3_7_wgs_224_tpt_112_halfLds_sp_ip_CI_unitstride_sbrr_dirReg
                                        ; -- End function
	.section	.AMDGPU.csdata,"",@progbits
; Kernel info:
; codeLenInByte = 12708
; NumSgprs: 34
; NumVgprs: 101
; ScratchSize: 0
; MemoryBound: 0
; FloatMode: 240
; IeeeMode: 1
; LDSByteSize: 0 bytes/workgroup (compile time only)
; SGPRBlocks: 4
; VGPRBlocks: 12
; NumSGPRsForWavesPerEU: 34
; NumVGPRsForWavesPerEU: 101
; Occupancy: 12
; WaveLimiterHint : 1
; COMPUTE_PGM_RSRC2:SCRATCH_EN: 0
; COMPUTE_PGM_RSRC2:USER_SGPR: 2
; COMPUTE_PGM_RSRC2:TRAP_HANDLER: 0
; COMPUTE_PGM_RSRC2:TGID_X_EN: 1
; COMPUTE_PGM_RSRC2:TGID_Y_EN: 0
; COMPUTE_PGM_RSRC2:TGID_Z_EN: 0
; COMPUTE_PGM_RSRC2:TIDIG_COMP_CNT: 0
	.text
	.p2alignl 7, 3214868480
	.fill 96, 4, 3214868480
	.type	__hip_cuid_4071e7127e6bdf9a,@object ; @__hip_cuid_4071e7127e6bdf9a
	.section	.bss,"aw",@nobits
	.globl	__hip_cuid_4071e7127e6bdf9a
__hip_cuid_4071e7127e6bdf9a:
	.byte	0                               ; 0x0
	.size	__hip_cuid_4071e7127e6bdf9a, 1

	.ident	"AMD clang version 19.0.0git (https://github.com/RadeonOpenCompute/llvm-project roc-6.4.0 25133 c7fe45cf4b819c5991fe208aaa96edf142730f1d)"
	.section	".note.GNU-stack","",@progbits
	.addrsig
	.addrsig_sym __hip_cuid_4071e7127e6bdf9a
	.amdgpu_metadata
---
amdhsa.kernels:
  - .args:
      - .actual_access:  read_only
        .address_space:  global
        .offset:         0
        .size:           8
        .value_kind:     global_buffer
      - .offset:         8
        .size:           8
        .value_kind:     by_value
      - .actual_access:  read_only
        .address_space:  global
        .offset:         16
        .size:           8
        .value_kind:     global_buffer
      - .actual_access:  read_only
        .address_space:  global
        .offset:         24
        .size:           8
        .value_kind:     global_buffer
      - .offset:         32
        .size:           8
        .value_kind:     by_value
      - .actual_access:  read_only
        .address_space:  global
        .offset:         40
        .size:           8
        .value_kind:     global_buffer
      - .actual_access:  read_only
        .address_space:  global
        .offset:         48
        .size:           8
        .value_kind:     global_buffer
      - .offset:         56
        .size:           4
        .value_kind:     by_value
      - .actual_access:  read_only
        .address_space:  global
        .offset:         64
        .size:           8
        .value_kind:     global_buffer
      - .actual_access:  read_only
        .address_space:  global
        .offset:         72
        .size:           8
        .value_kind:     global_buffer
      - .address_space:  global
        .offset:         80
        .size:           8
        .value_kind:     global_buffer
    .group_segment_fixed_size: 0
    .kernarg_segment_align: 8
    .kernarg_segment_size: 88
    .language:       OpenCL C
    .language_version:
      - 2
      - 0
    .max_flat_workgroup_size: 224
    .name:           fft_rtc_fwd_len2016_factors_2_2_2_2_2_3_3_7_wgs_224_tpt_112_halfLds_sp_ip_CI_unitstride_sbrr_dirReg
    .private_segment_fixed_size: 0
    .sgpr_count:     34
    .sgpr_spill_count: 0
    .symbol:         fft_rtc_fwd_len2016_factors_2_2_2_2_2_3_3_7_wgs_224_tpt_112_halfLds_sp_ip_CI_unitstride_sbrr_dirReg.kd
    .uniform_work_group_size: 1
    .uses_dynamic_stack: false
    .vgpr_count:     101
    .vgpr_spill_count: 0
    .wavefront_size: 32
    .workgroup_processor_mode: 1
amdhsa.target:   amdgcn-amd-amdhsa--gfx1201
amdhsa.version:
  - 1
  - 2
...

	.end_amdgpu_metadata
